;; amdgpu-corpus repo=ROCm/rocFFT kind=compiled arch=gfx906 opt=O3
	.text
	.amdgcn_target "amdgcn-amd-amdhsa--gfx906"
	.amdhsa_code_object_version 6
	.protected	fft_rtc_fwd_len320_factors_10_4_4_2_wgs_64_tpt_16_halfLds_half_ip_CI_sbrr_dirReg ; -- Begin function fft_rtc_fwd_len320_factors_10_4_4_2_wgs_64_tpt_16_halfLds_half_ip_CI_sbrr_dirReg
	.globl	fft_rtc_fwd_len320_factors_10_4_4_2_wgs_64_tpt_16_halfLds_half_ip_CI_sbrr_dirReg
	.p2align	8
	.type	fft_rtc_fwd_len320_factors_10_4_4_2_wgs_64_tpt_16_halfLds_half_ip_CI_sbrr_dirReg,@function
fft_rtc_fwd_len320_factors_10_4_4_2_wgs_64_tpt_16_halfLds_half_ip_CI_sbrr_dirReg: ; @fft_rtc_fwd_len320_factors_10_4_4_2_wgs_64_tpt_16_halfLds_half_ip_CI_sbrr_dirReg
; %bb.0:
	s_load_dwordx2 s[14:15], s[4:5], 0x18
	s_load_dwordx4 s[8:11], s[4:5], 0x0
	s_load_dwordx2 s[12:13], s[4:5], 0x50
	v_lshrrev_b32_e32 v13, 4, v0
	v_mov_b32_e32 v3, 0
	s_waitcnt lgkmcnt(0)
	s_load_dwordx2 s[2:3], s[14:15], 0x0
	v_cmp_lt_u64_e64 s[0:1], s[10:11], 2
	v_mov_b32_e32 v1, 0
	v_lshl_or_b32 v5, s6, 2, v13
	v_mov_b32_e32 v6, v3
	s_and_b64 vcc, exec, s[0:1]
	v_mov_b32_e32 v2, 0
	s_cbranch_vccnz .LBB0_8
; %bb.1:
	s_load_dwordx2 s[0:1], s[4:5], 0x10
	s_add_u32 s6, s14, 8
	s_addc_u32 s7, s15, 0
	v_mov_b32_e32 v1, 0
	v_mov_b32_e32 v2, 0
	s_waitcnt lgkmcnt(0)
	s_add_u32 s16, s0, 8
	s_addc_u32 s17, s1, 0
	s_mov_b64 s[18:19], 1
.LBB0_2:                                ; =>This Inner Loop Header: Depth=1
	s_load_dwordx2 s[20:21], s[16:17], 0x0
                                        ; implicit-def: $vgpr7_vgpr8
	s_waitcnt lgkmcnt(0)
	v_or_b32_e32 v4, s21, v6
	v_cmp_ne_u64_e32 vcc, 0, v[3:4]
	s_and_saveexec_b64 s[0:1], vcc
	s_xor_b64 s[22:23], exec, s[0:1]
	s_cbranch_execz .LBB0_4
; %bb.3:                                ;   in Loop: Header=BB0_2 Depth=1
	v_cvt_f32_u32_e32 v4, s20
	v_cvt_f32_u32_e32 v7, s21
	s_sub_u32 s0, 0, s20
	s_subb_u32 s1, 0, s21
	v_mac_f32_e32 v4, 0x4f800000, v7
	v_rcp_f32_e32 v4, v4
	v_mul_f32_e32 v4, 0x5f7ffffc, v4
	v_mul_f32_e32 v7, 0x2f800000, v4
	v_trunc_f32_e32 v7, v7
	v_mac_f32_e32 v4, 0xcf800000, v7
	v_cvt_u32_f32_e32 v7, v7
	v_cvt_u32_f32_e32 v4, v4
	v_mul_lo_u32 v8, s0, v7
	v_mul_hi_u32 v9, s0, v4
	v_mul_lo_u32 v11, s1, v4
	v_mul_lo_u32 v10, s0, v4
	v_add_u32_e32 v8, v9, v8
	v_add_u32_e32 v8, v8, v11
	v_mul_hi_u32 v9, v4, v10
	v_mul_lo_u32 v11, v4, v8
	v_mul_hi_u32 v14, v4, v8
	v_mul_hi_u32 v12, v7, v10
	v_mul_lo_u32 v10, v7, v10
	v_mul_hi_u32 v15, v7, v8
	v_add_co_u32_e32 v9, vcc, v9, v11
	v_addc_co_u32_e32 v11, vcc, 0, v14, vcc
	v_mul_lo_u32 v8, v7, v8
	v_add_co_u32_e32 v9, vcc, v9, v10
	v_addc_co_u32_e32 v9, vcc, v11, v12, vcc
	v_addc_co_u32_e32 v10, vcc, 0, v15, vcc
	v_add_co_u32_e32 v8, vcc, v9, v8
	v_addc_co_u32_e32 v9, vcc, 0, v10, vcc
	v_add_co_u32_e32 v4, vcc, v4, v8
	v_addc_co_u32_e32 v7, vcc, v7, v9, vcc
	v_mul_lo_u32 v8, s0, v7
	v_mul_hi_u32 v9, s0, v4
	v_mul_lo_u32 v10, s1, v4
	v_mul_lo_u32 v11, s0, v4
	v_add_u32_e32 v8, v9, v8
	v_add_u32_e32 v8, v8, v10
	v_mul_lo_u32 v12, v4, v8
	v_mul_hi_u32 v14, v4, v11
	v_mul_hi_u32 v15, v4, v8
	;; [unrolled: 1-line block ×3, first 2 shown]
	v_mul_lo_u32 v11, v7, v11
	v_mul_hi_u32 v9, v7, v8
	v_add_co_u32_e32 v12, vcc, v14, v12
	v_addc_co_u32_e32 v14, vcc, 0, v15, vcc
	v_mul_lo_u32 v8, v7, v8
	v_add_co_u32_e32 v11, vcc, v12, v11
	v_addc_co_u32_e32 v10, vcc, v14, v10, vcc
	v_addc_co_u32_e32 v9, vcc, 0, v9, vcc
	v_add_co_u32_e32 v8, vcc, v10, v8
	v_addc_co_u32_e32 v9, vcc, 0, v9, vcc
	v_add_co_u32_e32 v4, vcc, v4, v8
	v_addc_co_u32_e32 v9, vcc, v7, v9, vcc
	v_mad_u64_u32 v[7:8], s[0:1], v5, v9, 0
	v_mul_hi_u32 v10, v5, v4
	v_add_co_u32_e32 v11, vcc, v10, v7
	v_addc_co_u32_e32 v12, vcc, 0, v8, vcc
	v_mad_u64_u32 v[7:8], s[0:1], v6, v4, 0
	v_mad_u64_u32 v[9:10], s[0:1], v6, v9, 0
	v_add_co_u32_e32 v4, vcc, v11, v7
	v_addc_co_u32_e32 v4, vcc, v12, v8, vcc
	v_addc_co_u32_e32 v7, vcc, 0, v10, vcc
	v_add_co_u32_e32 v4, vcc, v4, v9
	v_addc_co_u32_e32 v9, vcc, 0, v7, vcc
	v_mul_lo_u32 v10, s21, v4
	v_mul_lo_u32 v11, s20, v9
	v_mad_u64_u32 v[7:8], s[0:1], s20, v4, 0
	v_add3_u32 v8, v8, v11, v10
	v_sub_u32_e32 v10, v6, v8
	v_mov_b32_e32 v11, s21
	v_sub_co_u32_e32 v7, vcc, v5, v7
	v_subb_co_u32_e64 v10, s[0:1], v10, v11, vcc
	v_subrev_co_u32_e64 v11, s[0:1], s20, v7
	v_subbrev_co_u32_e64 v10, s[0:1], 0, v10, s[0:1]
	v_cmp_le_u32_e64 s[0:1], s21, v10
	v_cndmask_b32_e64 v12, 0, -1, s[0:1]
	v_cmp_le_u32_e64 s[0:1], s20, v11
	v_cndmask_b32_e64 v11, 0, -1, s[0:1]
	v_cmp_eq_u32_e64 s[0:1], s21, v10
	v_cndmask_b32_e64 v10, v12, v11, s[0:1]
	v_add_co_u32_e64 v11, s[0:1], 2, v4
	v_addc_co_u32_e64 v12, s[0:1], 0, v9, s[0:1]
	v_add_co_u32_e64 v14, s[0:1], 1, v4
	v_addc_co_u32_e64 v15, s[0:1], 0, v9, s[0:1]
	v_subb_co_u32_e32 v8, vcc, v6, v8, vcc
	v_cmp_ne_u32_e64 s[0:1], 0, v10
	v_cmp_le_u32_e32 vcc, s21, v8
	v_cndmask_b32_e64 v10, v15, v12, s[0:1]
	v_cndmask_b32_e64 v12, 0, -1, vcc
	v_cmp_le_u32_e32 vcc, s20, v7
	v_cndmask_b32_e64 v7, 0, -1, vcc
	v_cmp_eq_u32_e32 vcc, s21, v8
	v_cndmask_b32_e32 v7, v12, v7, vcc
	v_cmp_ne_u32_e32 vcc, 0, v7
	v_cndmask_b32_e64 v7, v14, v11, s[0:1]
	v_cndmask_b32_e32 v8, v9, v10, vcc
	v_cndmask_b32_e32 v7, v4, v7, vcc
.LBB0_4:                                ;   in Loop: Header=BB0_2 Depth=1
	s_andn2_saveexec_b64 s[0:1], s[22:23]
	s_cbranch_execz .LBB0_6
; %bb.5:                                ;   in Loop: Header=BB0_2 Depth=1
	v_cvt_f32_u32_e32 v4, s20
	s_sub_i32 s22, 0, s20
	v_rcp_iflag_f32_e32 v4, v4
	v_mul_f32_e32 v4, 0x4f7ffffe, v4
	v_cvt_u32_f32_e32 v4, v4
	v_mul_lo_u32 v7, s22, v4
	v_mul_hi_u32 v7, v4, v7
	v_add_u32_e32 v4, v4, v7
	v_mul_hi_u32 v4, v5, v4
	v_mul_lo_u32 v7, v4, s20
	v_add_u32_e32 v8, 1, v4
	v_sub_u32_e32 v7, v5, v7
	v_subrev_u32_e32 v9, s20, v7
	v_cmp_le_u32_e32 vcc, s20, v7
	v_cndmask_b32_e32 v7, v7, v9, vcc
	v_cndmask_b32_e32 v4, v4, v8, vcc
	v_add_u32_e32 v8, 1, v4
	v_cmp_le_u32_e32 vcc, s20, v7
	v_cndmask_b32_e32 v7, v4, v8, vcc
	v_mov_b32_e32 v8, v3
.LBB0_6:                                ;   in Loop: Header=BB0_2 Depth=1
	s_or_b64 exec, exec, s[0:1]
	v_mul_lo_u32 v4, v8, s20
	v_mul_lo_u32 v11, v7, s21
	v_mad_u64_u32 v[9:10], s[0:1], v7, s20, 0
	s_load_dwordx2 s[0:1], s[6:7], 0x0
	s_add_u32 s18, s18, 1
	v_add3_u32 v4, v10, v11, v4
	v_sub_co_u32_e32 v5, vcc, v5, v9
	v_subb_co_u32_e32 v4, vcc, v6, v4, vcc
	s_waitcnt lgkmcnt(0)
	v_mul_lo_u32 v4, s0, v4
	v_mul_lo_u32 v6, s1, v5
	v_mad_u64_u32 v[1:2], s[0:1], s0, v5, v[1:2]
	s_addc_u32 s19, s19, 0
	s_add_u32 s6, s6, 8
	v_add3_u32 v2, v6, v2, v4
	v_mov_b32_e32 v4, s10
	v_mov_b32_e32 v5, s11
	s_addc_u32 s7, s7, 0
	v_cmp_ge_u64_e32 vcc, s[18:19], v[4:5]
	s_add_u32 s16, s16, 8
	s_addc_u32 s17, s17, 0
	s_cbranch_vccnz .LBB0_9
; %bb.7:                                ;   in Loop: Header=BB0_2 Depth=1
	v_mov_b32_e32 v5, v7
	v_mov_b32_e32 v6, v8
	s_branch .LBB0_2
.LBB0_8:
	v_mov_b32_e32 v8, v6
	v_mov_b32_e32 v7, v5
.LBB0_9:
	s_lshl_b64 s[0:1], s[10:11], 3
	s_add_u32 s0, s14, s0
	s_addc_u32 s1, s15, s1
	s_load_dwordx2 s[6:7], s[0:1], 0x0
	s_load_dwordx2 s[10:11], s[4:5], 0x20
	v_and_b32_e32 v17, 15, v0
	v_or_b32_e32 v21, 16, v17
	v_or_b32_e32 v20, 32, v17
	s_waitcnt lgkmcnt(0)
	v_mul_lo_u32 v3, s6, v8
	v_mul_lo_u32 v4, s7, v7
	v_mad_u64_u32 v[15:16], s[0:1], s6, v7, v[1:2]
	v_cmp_gt_u64_e32 vcc, s[10:11], v[7:8]
	v_cmp_le_u64_e64 s[0:1], s[10:11], v[7:8]
	v_add3_u32 v16, v4, v16, v3
	v_or_b32_e32 v19, 48, v17
	v_or_b32_e32 v18, 64, v17
                                        ; implicit-def: $vgpr8
                                        ; implicit-def: $vgpr5
                                        ; implicit-def: $vgpr2
                                        ; implicit-def: $vgpr9
                                        ; implicit-def: $vgpr6
                                        ; implicit-def: $vgpr11
                                        ; implicit-def: $vgpr3
                                        ; implicit-def: $vgpr14
                                        ; implicit-def: $vgpr12
	s_and_saveexec_b64 s[4:5], s[0:1]
	s_xor_b64 s[0:1], exec, s[4:5]
; %bb.10:
	v_or_b32_e32 v8, 16, v17
	v_or_b32_e32 v5, 0x50, v17
	;; [unrolled: 1-line block ×9, first 2 shown]
; %bb.11:
	s_or_saveexec_b64 s[4:5], s[0:1]
	v_lshlrev_b64 v[0:1], 2, v[15:16]
                                        ; implicit-def: $vgpr40
                                        ; implicit-def: $vgpr15
                                        ; implicit-def: $vgpr41
                                        ; implicit-def: $vgpr37
                                        ; implicit-def: $vgpr42
                                        ; implicit-def: $vgpr7
                                        ; implicit-def: $vgpr43
                                        ; implicit-def: $vgpr36
                                        ; implicit-def: $vgpr45
                                        ; implicit-def: $vgpr39
                                        ; implicit-def: $vgpr30
                                        ; implicit-def: $vgpr34
                                        ; implicit-def: $vgpr31
                                        ; implicit-def: $vgpr26
                                        ; implicit-def: $vgpr32
                                        ; implicit-def: $vgpr27
                                        ; implicit-def: $vgpr48
                                        ; implicit-def: $vgpr28
                                        ; implicit-def: $vgpr49
                                        ; implicit-def: $vgpr29
                                        ; implicit-def: $vgpr4
                                        ; implicit-def: $vgpr22
                                        ; implicit-def: $vgpr23
                                        ; implicit-def: $vgpr24
                                        ; implicit-def: $vgpr44
                                        ; implicit-def: $vgpr33
                                        ; implicit-def: $vgpr35
                                        ; implicit-def: $vgpr16
                                        ; implicit-def: $vgpr38
                                        ; implicit-def: $vgpr10
	s_xor_b64 exec, exec, s[4:5]
	s_cbranch_execz .LBB0_13
; %bb.12:
	v_mad_u64_u32 v[2:3], s[0:1], s2, v17, 0
	v_mov_b32_e32 v6, s13
	v_mad_u64_u32 v[3:4], s[0:1], s3, v17, v[3:4]
	v_mad_u64_u32 v[4:5], s[0:1], s2, v20, 0
	v_add_co_u32_e64 v29, s[0:1], s12, v0
	v_addc_co_u32_e64 v32, s[0:1], v6, v1, s[0:1]
	v_mad_u64_u32 v[5:6], s[0:1], s3, v20, v[5:6]
	v_lshlrev_b64 v[2:3], 2, v[2:3]
	v_mad_u64_u32 v[6:7], s[0:1], s2, v18, 0
	v_add_co_u32_e64 v8, s[0:1], v29, v2
	v_addc_co_u32_e64 v9, s[0:1], v32, v3, s[0:1]
	v_lshlrev_b64 v[3:4], 2, v[4:5]
	v_mov_b32_e32 v2, v7
	v_mad_u64_u32 v[10:11], s[0:1], s3, v18, v[2:3]
	v_or_b32_e32 v2, 0x60, v17
	v_mad_u64_u32 v[11:12], s[0:1], s2, v2, 0
	v_add_co_u32_e64 v22, s[0:1], v29, v3
	v_mov_b32_e32 v7, v10
	v_addc_co_u32_e64 v23, s[0:1], v32, v4, s[0:1]
	v_lshlrev_b64 v[4:5], 2, v[6:7]
	v_mov_b32_e32 v3, v12
	v_mad_u64_u32 v[6:7], s[0:1], s3, v2, v[3:4]
	v_or_b32_e32 v3, 0x80, v17
	v_mad_u64_u32 v[14:15], s[0:1], s2, v3, 0
	v_add_co_u32_e64 v24, s[0:1], v29, v4
	v_mov_b32_e32 v12, v6
	v_mov_b32_e32 v6, v15
	v_addc_co_u32_e64 v25, s[0:1], v32, v5, s[0:1]
	v_mad_u64_u32 v[6:7], s[0:1], s3, v3, v[6:7]
	v_or_b32_e32 v7, 0xa0, v17
	v_lshlrev_b64 v[4:5], 2, v[11:12]
	v_mad_u64_u32 v[10:11], s[0:1], s2, v7, 0
	v_add_co_u32_e64 v30, s[0:1], v29, v4
	v_mov_b32_e32 v15, v6
	v_mov_b32_e32 v6, v11
	v_addc_co_u32_e64 v31, s[0:1], v32, v5, s[0:1]
	v_mad_u64_u32 v[6:7], s[0:1], s3, v7, v[6:7]
	v_or_b32_e32 v7, 0xc0, v17
	v_lshlrev_b64 v[4:5], 2, v[14:15]
	;; [unrolled: 8-line block ×5, first 2 shown]
	v_mad_u64_u32 v[10:11], s[0:1], s2, v7, 0
	v_add_co_u32_e64 v46, s[0:1], v29, v4
	v_mov_b32_e32 v15, v6
	v_mov_b32_e32 v6, v11
	v_addc_co_u32_e64 v47, s[0:1], v32, v5, s[0:1]
	v_mad_u64_u32 v[6:7], s[0:1], s3, v7, v[6:7]
	v_lshlrev_b64 v[4:5], 2, v[14:15]
	v_mad_u64_u32 v[14:15], s[0:1], s2, v21, 0
	v_add_co_u32_e64 v48, s[0:1], v29, v4
	v_mov_b32_e32 v11, v6
	v_addc_co_u32_e64 v49, s[0:1], v32, v5, s[0:1]
	v_lshlrev_b64 v[4:5], 2, v[10:11]
	v_mad_u64_u32 v[10:11], s[0:1], s2, v19, 0
	v_mov_b32_e32 v6, v15
	v_mad_u64_u32 v[6:7], s[0:1], s3, v21, v[6:7]
	v_add_co_u32_e64 v50, s[0:1], v29, v4
	v_mov_b32_e32 v4, v11
	v_addc_co_u32_e64 v51, s[0:1], v32, v5, s[0:1]
	v_mad_u64_u32 v[4:5], s[0:1], s3, v19, v[4:5]
	v_mov_b32_e32 v15, v6
	v_or_b32_e32 v5, 0x50, v17
	v_lshlrev_b64 v[6:7], 2, v[14:15]
	v_mad_u64_u32 v[14:15], s[0:1], s2, v5, 0
	v_add_co_u32_e64 v52, s[0:1], v29, v6
	v_or_b32_e32 v6, 0x70, v17
	v_addc_co_u32_e64 v53, s[0:1], v32, v7, s[0:1]
	v_mov_b32_e32 v11, v4
	v_mov_b32_e32 v4, v15
	v_mad_u64_u32 v[26:27], s[0:1], s2, v6, 0
	v_mad_u64_u32 v[15:16], s[0:1], s3, v5, v[4:5]
	v_lshlrev_b64 v[10:11], 2, v[10:11]
	v_mov_b32_e32 v4, v27
	v_add_co_u32_e64 v54, s[0:1], v29, v10
	v_addc_co_u32_e64 v55, s[0:1], v32, v11, s[0:1]
	v_lshlrev_b64 v[10:11], 2, v[14:15]
	v_mad_u64_u32 v[14:15], s[0:1], s3, v6, v[4:5]
	v_or_b32_e32 v12, 0x90, v17
	v_mad_u64_u32 v[15:16], s[0:1], s2, v12, 0
	v_add_co_u32_e64 v56, s[0:1], v29, v10
	v_mov_b32_e32 v27, v14
	v_mov_b32_e32 v4, v16
	v_addc_co_u32_e64 v57, s[0:1], v32, v11, s[0:1]
	v_lshlrev_b64 v[10:11], 2, v[26:27]
	v_mad_u64_u32 v[26:27], s[0:1], s3, v12, v[4:5]
	v_or_b32_e32 v7, 0xb0, v17
	v_mad_u64_u32 v[27:28], s[0:1], s2, v7, 0
	v_add_co_u32_e64 v58, s[0:1], v29, v10
	v_mov_b32_e32 v16, v26
	v_mov_b32_e32 v4, v28
	;; [unrolled: 8-line block ×6, first 2 shown]
	v_addc_co_u32_e64 v67, s[0:1], v32, v11, s[0:1]
	v_lshlrev_b64 v[10:11], 2, v[15:16]
	v_mad_u64_u32 v[14:15], s[0:1], s3, v7, v[4:5]
	v_add_co_u32_e64 v68, s[0:1], v29, v10
	v_mov_b32_e32 v28, v14
	v_addc_co_u32_e64 v69, s[0:1], v32, v11, s[0:1]
	v_lshlrev_b64 v[10:11], 2, v[27:28]
	v_mov_b32_e32 v14, v18
	v_add_co_u32_e64 v70, s[0:1], v29, v10
	v_addc_co_u32_e64 v71, s[0:1], v32, v11, s[0:1]
	global_load_dword v15, v[8:9], off
	global_load_dword v16, v[46:47], off
	global_load_dword v36, v[44:45], off
	global_load_dword v33, v[42:43], off
	global_load_dword v7, v[40:41], off
	global_load_dword v35, v[30:31], off
	global_load_dword v37, v[24:25], off
	global_load_dword v10, v[22:23], off
	global_load_dword v39, v[48:49], off
	global_load_dword v38, v[50:51], off
	global_load_dword v34, v[52:53], off
	global_load_dword v26, v[56:57], off
	global_load_dword v27, v[60:61], off
	global_load_dword v28, v[64:65], off
	global_load_dword v29, v[68:69], off
                                        ; kill: killed $vgpr30 killed $vgpr31
                                        ; kill: killed $vgpr48 killed $vgpr49
                                        ; kill: killed $vgpr50 killed $vgpr51
                                        ; kill: killed $vgpr60 killed $vgpr61
                                        ; kill: killed $vgpr64 killed $vgpr65
                                        ; kill: killed $vgpr24 killed $vgpr25
                                        ; kill: killed $vgpr52 killed $vgpr53
                                        ; kill: killed $vgpr68 killed $vgpr69
                                        ; kill: killed $vgpr8 killed $vgpr9
                                        ; kill: killed $vgpr22 killed $vgpr23
                                        ; kill: killed $vgpr40 killed $vgpr41
                                        ; kill: killed $vgpr42 killed $vgpr43
                                        ; kill: killed $vgpr56 killed $vgpr57
                                        ; kill: killed $vgpr44 killed $vgpr45
                                        ; kill: killed $vgpr46 killed $vgpr47
	global_load_dword v4, v[62:63], off
	global_load_dword v22, v[58:59], off
	;; [unrolled: 1-line block ×5, first 2 shown]
	v_mov_b32_e32 v11, v19
	v_mov_b32_e32 v9, v20
	;; [unrolled: 1-line block ×3, first 2 shown]
	s_waitcnt vmcnt(19)
	v_lshrrev_b32_e32 v40, 16, v15
	s_waitcnt vmcnt(17)
	v_lshrrev_b32_e32 v43, 16, v36
	;; [unrolled: 2-line block ×10, first 2 shown]
.LBB0_13:
	s_or_b64 exec, exec, s[4:5]
	v_mul_u32_u24_e32 v25, 0x140, v13
	v_add_f16_e32 v13, v15, v37
	v_add_f16_e32 v13, v13, v7
	;; [unrolled: 1-line block ×5, first 2 shown]
	v_fma_f16 v13, v13, -0.5, v15
	v_sub_f16_e32 v46, v41, v45
	s_movk_i32 s1, 0x3b9c
	s_mov_b32 s7, 0xbb9c
	v_fma_f16 v47, v46, s1, v13
	v_sub_f16_e32 v51, v42, v43
	s_movk_i32 s5, 0x38b4
	v_sub_f16_e32 v52, v37, v7
	v_sub_f16_e32 v53, v39, v36
	v_fma_f16 v13, v46, s7, v13
	s_mov_b32 s6, 0xb8b4
	v_fma_f16 v47, v51, s5, v47
	v_add_f16_e32 v52, v52, v53
	s_movk_i32 s4, 0x34f2
	v_fma_f16 v13, v51, s6, v13
	v_fma_f16 v53, v52, s4, v47
	;; [unrolled: 1-line block ×3, first 2 shown]
	v_add_f16_e32 v13, v37, v39
	v_fma_f16 v15, v13, -0.5, v15
	v_fma_f16 v13, v51, s7, v15
	v_fma_f16 v15, v51, s1, v15
	;; [unrolled: 1-line block ×4, first 2 shown]
	v_add_f16_e32 v46, v40, v41
	v_add_f16_e32 v46, v46, v42
	;; [unrolled: 1-line block ×3, first 2 shown]
	v_sub_f16_e32 v47, v7, v37
	v_sub_f16_e32 v54, v36, v39
	v_add_f16_e32 v51, v46, v45
	v_add_f16_e32 v46, v42, v43
	;; [unrolled: 1-line block ×3, first 2 shown]
	v_fma_f16 v46, v46, -0.5, v40
	v_sub_f16_e32 v39, v37, v39
	v_fma_f16 v13, v47, s4, v13
	v_fma_f16 v15, v47, s4, v15
	;; [unrolled: 1-line block ×3, first 2 shown]
	v_sub_f16_e32 v47, v7, v36
	v_fma_f16 v7, v47, s6, v37
	v_sub_f16_e32 v36, v41, v42
	v_sub_f16_e32 v37, v45, v43
	v_add_f16_e32 v36, v36, v37
	v_fma_f16 v37, v39, s1, v46
	v_fma_f16 v37, v47, s5, v37
	;; [unrolled: 1-line block ×4, first 2 shown]
	v_add_f16_e32 v36, v41, v45
	v_fma_f16 v40, v36, -0.5, v40
	v_fma_f16 v36, v47, s1, v40
	v_fma_f16 v40, v47, s7, v40
	;; [unrolled: 1-line block ×4, first 2 shown]
	v_add_f16_e32 v40, v10, v35
	v_add_f16_e32 v40, v40, v33
	;; [unrolled: 1-line block ×3, first 2 shown]
	v_sub_f16_e32 v37, v42, v41
	v_sub_f16_e32 v41, v43, v45
	v_add_f16_e32 v55, v40, v38
	v_add_f16_e32 v40, v33, v16
	v_pk_add_f16 v46, v35, v33 neg_lo:[0,1] neg_hi:[0,1]
	v_pk_add_f16 v47, v38, v16 neg_lo:[0,1] neg_hi:[0,1]
	v_add_f16_e32 v37, v37, v41
	v_fma_f16 v42, v40, -0.5, v10
	v_pk_add_f16 v40, v35, v38 neg_lo:[0,1] neg_hi:[0,1]
	v_pk_add_f16 v41, v33, v16 neg_lo:[0,1] neg_hi:[0,1]
	v_pk_add_f16 v46, v46, v47
	s_mov_b32 s0, 0xffff
	v_lshrrev_b32_e32 v43, 16, v40
	v_bfi_b32 v46, s0, v46, v41
	s_mov_b32 s10, 0x38b434f2
	v_fma_f16 v45, v43, s1, v42
	v_pk_mul_f16 v46, v46, s10
	v_fma_f16 v42, v43, s7, v42
	v_sub_f16_sdwa v42, v42, v46 dst_sel:DWORD dst_unused:UNUSED_PAD src0_sel:DWORD src1_sel:WORD_1
	v_add_f16_e32 v57, v46, v42
	v_lshrrev_b32_e32 v42, 16, v10
	v_add_f16_sdwa v43, v42, v35 dst_sel:DWORD dst_unused:UNUSED_PAD src0_sel:DWORD src1_sel:WORD_1
	v_add_f16_sdwa v43, v43, v33 dst_sel:DWORD dst_unused:UNUSED_PAD src0_sel:DWORD src1_sel:WORD_1
	;; [unrolled: 1-line block ×4, first 2 shown]
	v_add_f16_sdwa v43, v33, v16 dst_sel:DWORD dst_unused:UNUSED_PAD src0_sel:WORD_1 src1_sel:WORD_1
	v_add_f16_sdwa v45, v46, v45 dst_sel:DWORD dst_unused:UNUSED_PAD src0_sel:WORD_1 src1_sel:DWORD
	v_fma_f16 v42, v43, -0.5, v42
	v_add_f16_e32 v56, v46, v45
	v_pk_add_f16 v45, v33, v35 neg_lo:[0,1] neg_hi:[0,1]
	v_pk_add_f16 v46, v16, v38 neg_lo:[0,1] neg_hi:[0,1]
	v_fma_f16 v43, v40, s7, v42
	v_sub_f16_sdwa v33, v35, v33 dst_sel:DWORD dst_unused:UNUSED_PAD src0_sel:WORD_1 src1_sel:WORD_1
	v_sub_f16_sdwa v16, v38, v16 dst_sel:DWORD dst_unused:UNUSED_PAD src0_sel:WORD_1 src1_sel:WORD_1
	v_pk_add_f16 v47, v35, v38
	v_fma_f16 v43, v41, s6, v43
	v_add_f16_e32 v16, v33, v16
	v_fma_f16 v35, v40, s1, v42
	v_fma_f16 v33, v16, s4, v43
	;; [unrolled: 1-line block ×4, first 2 shown]
	v_mul_f16_e32 v16, 0x38b4, v33
	s_movk_i32 s11, 0x3a79
	v_fma_f16 v38, v56, s11, v16
	v_mul_f16_e32 v16, 0x3a79, v57
	v_fma_f16 v61, v35, s5, -v16
	v_mul_f16_e32 v16, 0xb8b4, v56
	v_fma_f16 v16, v33, s11, v16
	v_mul_f16_e32 v33, 0x3a79, v35
	v_add_f16_e32 v60, v53, v38
	v_add_f16_e32 v42, v51, v58
	v_fma_f16 v35, v57, s6, -v33
	v_sub_f16_e32 v57, v53, v38
	v_sub_f16_e32 v38, v51, v58
	v_add_f16_e32 v51, v27, v28
	v_add_f16_e32 v62, v52, v61
	v_sub_f16_e32 v61, v52, v61
	v_fma_f16 v51, v51, -0.5, v34
	v_sub_f16_e32 v52, v31, v49
	v_add_f16_e32 v33, v54, v35
	v_sub_f16_e32 v35, v54, v35
	v_fma_f16 v53, v52, s1, v51
	v_sub_f16_e32 v54, v32, v48
	v_sub_f16_e32 v56, v26, v27
	;; [unrolled: 1-line block ×3, first 2 shown]
	v_fma_f16 v53, v54, s5, v53
	v_add_f16_e32 v56, v56, v58
	v_fma_f16 v58, v56, s4, v53
	v_fma_f16 v51, v52, s7, v51
	v_add_f16_e32 v53, v26, v29
	v_add_f16_e32 v59, v50, v55
	v_sub_f16_e32 v55, v50, v55
	v_add_f16_e32 v50, v34, v26
	v_fma_f16 v51, v54, s6, v51
	v_fma_f16 v34, v53, -0.5, v34
	v_fma_f16 v51, v56, s4, v51
	v_fma_f16 v53, v54, s7, v34
	v_sub_f16_e32 v56, v27, v26
	v_sub_f16_e32 v63, v28, v29
	v_fma_f16 v34, v54, s1, v34
	v_add_f16_e32 v56, v56, v63
	v_fma_f16 v34, v52, s6, v34
	v_fma_f16 v64, v56, s4, v34
	v_add_f16_e32 v34, v30, v31
	v_add_f16_e32 v34, v34, v32
	v_add_f16_e32 v34, v34, v48
	v_add_f16_e32 v50, v50, v27
	v_add_f16_e32 v54, v34, v49
	v_add_f16_e32 v34, v32, v48
	v_add_f16_e32 v50, v50, v28
	v_fma_f16 v53, v52, s5, v53
	v_fma_f16 v52, v34, -0.5, v30
	v_sub_f16_e32 v26, v26, v29
	v_add_f16_e32 v50, v50, v29
	v_fma_f16 v29, v26, s7, v52
	v_sub_f16_e32 v27, v27, v28
	v_fma_f16 v28, v27, s6, v29
	v_sub_f16_e32 v29, v31, v32
	v_sub_f16_e32 v34, v49, v48
	v_add_f16_e32 v29, v29, v34
	v_fma_f16 v34, v29, s4, v28
	v_fma_f16 v28, v26, s1, v52
	;; [unrolled: 1-line block ×4, first 2 shown]
	v_add_f16_e32 v29, v31, v49
	v_fma_f16 v29, v29, -0.5, v30
	v_fma_f16 v30, v27, s1, v29
	v_fma_f16 v65, v26, s6, v30
	v_sub_f16_e32 v30, v32, v31
	v_sub_f16_e32 v31, v48, v49
	v_add_f16_e32 v30, v30, v31
	v_fma_f16 v27, v27, s7, v29
	s_waitcnt vmcnt(3)
	v_pk_add_f16 v31, v22, v4 neg_lo:[0,1] neg_hi:[0,1]
	s_waitcnt vmcnt(0)
	v_pk_add_f16 v32, v24, v23 neg_lo:[0,1] neg_hi:[0,1]
	v_fma_f16 v67, v26, s5, v27
	v_add_f16_e32 v27, v4, v23
	v_pk_add_f16 v68, v22, v24 neg_lo:[0,1] neg_hi:[0,1]
	v_pk_add_f16 v69, v4, v23 neg_lo:[0,1] neg_hi:[0,1]
	v_pk_add_f16 v31, v31, v32
	v_fma_f16 v27, v27, -0.5, v44
	v_lshrrev_b32_e32 v29, 16, v68
	v_bfi_b32 v31, s0, v31, v69
	v_mul_f16_e32 v66, 0x34f2, v30
	v_fma_f16 v30, v29, s1, v27
	v_pk_mul_f16 v31, v31, s10
	v_fma_f16 v27, v29, s7, v27
	v_add_f16_sdwa v30, v31, v30 dst_sel:DWORD dst_unused:UNUSED_PAD src0_sel:WORD_1 src1_sel:DWORD
	v_sub_f16_sdwa v27, v27, v31 dst_sel:DWORD dst_unused:UNUSED_PAD src0_sel:DWORD src1_sel:WORD_1
	v_lshrrev_b32_e32 v29, 16, v44
	v_add_f16_e32 v26, v44, v22
	v_add_f16_e32 v30, v31, v30
	;; [unrolled: 1-line block ×3, first 2 shown]
	v_add_f16_sdwa v31, v29, v22 dst_sel:DWORD dst_unused:UNUSED_PAD src0_sel:DWORD src1_sel:WORD_1
	v_add_f16_sdwa v32, v4, v23 dst_sel:DWORD dst_unused:UNUSED_PAD src0_sel:WORD_1 src1_sel:WORD_1
	v_add_f16_e32 v26, v26, v4
	v_add_f16_sdwa v31, v31, v4 dst_sel:DWORD dst_unused:UNUSED_PAD src0_sel:DWORD src1_sel:WORD_1
	v_fma_f16 v29, v32, -0.5, v29
	v_add_f16_e32 v26, v26, v23
	v_pk_add_f16 v70, v22, v24
	v_pk_add_f16 v71, v4, v22 neg_lo:[0,1] neg_hi:[0,1]
	v_pk_add_f16 v72, v23, v24 neg_lo:[0,1] neg_hi:[0,1]
	v_add_f16_sdwa v31, v31, v23 dst_sel:DWORD dst_unused:UNUSED_PAD src0_sel:DWORD src1_sel:WORD_1
	v_fma_f16 v32, v68, s7, v29
	v_sub_f16_sdwa v4, v22, v4 dst_sel:DWORD dst_unused:UNUSED_PAD src0_sel:WORD_1 src1_sel:WORD_1
	v_sub_f16_sdwa v22, v24, v23 dst_sel:DWORD dst_unused:UNUSED_PAD src0_sel:WORD_1 src1_sel:WORD_1
	v_fma_f16 v23, v68, s1, v29
	v_fma_f16 v32, v69, s6, v32
	v_add_f16_e32 v4, v4, v22
	v_fma_f16 v23, v69, s5, v23
	v_add_f16_e32 v26, v26, v24
	v_add_f16_sdwa v31, v31, v24 dst_sel:DWORD dst_unused:UNUSED_PAD src0_sel:DWORD src1_sel:WORD_1
	v_fma_f16 v22, v4, s4, v32
	v_fma_f16 v4, v4, s4, v23
	v_mul_f16_e32 v24, 0x3a79, v27
	v_fma_f16 v24, v4, s5, -v24
	v_mul_f16_e32 v4, 0x3a79, v4
	v_fma_f16 v4, v27, s6, -v4
	v_add_f16_e32 v73, v50, v26
	v_mul_f16_e32 v29, 0xb8b4, v30
	v_add_f16_e32 v49, v28, v4
	v_sub_f16_e32 v76, v50, v26
	v_sub_f16_e32 v50, v28, v4
	v_lshlrev_b32_e32 v4, 1, v25
	v_mul_f16_e32 v23, 0x38b4, v22
	v_fma_f16 v48, v22, s11, v29
	v_mul_u32_u24_e32 v22, 10, v17
	v_add_u32_e32 v28, 0, v4
	v_fma_f16 v63, v56, s4, v53
	v_lshl_add_u32 v56, v22, 1, v28
	v_pack_b32_f16 v22, v59, v60
	ds_write_b32 v56, v22
	v_pack_b32_f16 v22, v62, v55
	ds_write_b32 v56, v22 offset:8
	ds_write_b16 v56, v57 offset:12
	ds_write_b16 v56, v61 offset:18
	v_pk_fma_f16 v44, v70, 0.5, v44 op_sel_hi:[1,0,1] neg_lo:[1,0,0] neg_hi:[1,0,0]
	v_pk_mul_f16 v57, v69, s1 op_sel_hi:[1,0]
	v_pk_add_f16 v59, v57, v44 op_sel:[1,0] op_sel_hi:[0,1]
	v_pk_mul_f16 v60, v68, s5 op_sel_hi:[1,0]
	v_pk_add_f16 v44, v44, v57 op_sel:[0,1] op_sel_hi:[1,0] neg_lo:[0,1] neg_hi:[0,1]
	v_pk_add_f16 v59, v59, v60 op_sel:[0,1] op_sel_hi:[1,0] neg_lo:[0,1] neg_hi:[0,1]
	v_pk_add_f16 v61, v71, v72
	v_pk_add_f16 v44, v60, v44 op_sel:[1,0] op_sel_hi:[0,1]
	v_pk_fma_f16 v59, v61, s4, v59 op_sel_hi:[1,0,1]
	v_pk_fma_f16 v44, v61, s4, v44 op_sel_hi:[1,0,1]
	v_mul_f16_e32 v57, 0x34f2, v44
	v_lshrrev_b32_e32 v60, 16, v59
	v_mul_i32_i24_e32 v22, 10, v8
	v_fma_f16 v60, v60, s1, v57
	v_mul_f16_e32 v57, 0x34f2, v59
	v_lshrrev_b32_e32 v62, 16, v44
	v_fma_f16 v23, v30, s11, v23
	v_add_f16_e32 v75, v51, v24
	v_add_f16_e32 v52, v54, v31
	v_sub_f16_e32 v77, v51, v24
	v_sub_f16_e32 v51, v54, v31
	v_lshl_add_u32 v54, v22, 1, v28
	s_movk_i32 s6, 0xffee
	v_fma_f16 v62, v62, s1, -v57
	s_mov_b32 s7, 0x34f23b9c
	v_add_f16_e32 v74, v58, v23
	v_mad_i32_i24 v29, v8, s6, v54
	v_pack_b32_f16 v55, v67, v65
	v_add_f16_e32 v61, v63, v60
	v_add_f16_e32 v65, v64, v62
	s_mov_b32 s6, 0x34f2bb9c
	v_pk_mul_f16 v44, v44, s7
	v_mul_f16_e32 v37, 0x34f2, v37
	v_pk_fma_f16 v57, v59, s6, v44 op_sel:[0,0,1] op_sel_hi:[1,1,0] neg_lo:[0,0,1] neg_hi:[0,0,1]
	v_sub_f16_e32 v59, v63, v60
	v_sub_f16_e32 v60, v64, v62
	v_pack_b32_f16 v61, v61, v65
	v_pack_b32_f16 v62, v73, v74
	;; [unrolled: 1-line block ×3, first 2 shown]
	ds_write2_b32 v54, v62, v61 offset1:1
	v_pk_add_f16 v62, v37, v36 op_sel_hi:[0,1]
	v_pk_fma_f16 v10, v47, 0.5, v10 op_sel_hi:[1,0,1] neg_lo:[1,0,0] neg_hi:[1,0,0]
	v_pk_mul_f16 v36, v41, s1 op_sel_hi:[1,0]
	v_pk_add_f16 v37, v36, v10 op_sel:[1,0] op_sel_hi:[0,1]
	v_pk_mul_f16 v39, v40, s5 op_sel_hi:[1,0]
	v_pk_add_f16 v10, v10, v36 op_sel:[0,1] op_sel_hi:[1,0] neg_lo:[0,1] neg_hi:[0,1]
	v_pk_add_f16 v37, v37, v39 op_sel:[0,1] op_sel_hi:[1,0] neg_lo:[0,1] neg_hi:[0,1]
	v_pk_add_f16 v40, v45, v46
	v_pk_add_f16 v10, v39, v10 op_sel:[1,0] op_sel_hi:[0,1]
	v_pk_fma_f16 v37, v40, s4, v37 op_sel_hi:[1,0,1]
	v_pk_fma_f16 v10, v40, s4, v10 op_sel_hi:[1,0,1]
	v_mul_f16_e32 v36, 0x34f2, v10
	v_lshrrev_b32_e32 v39, 16, v37
	v_mul_f16_e32 v40, 0x34f2, v37
	v_lshrrev_b32_e32 v41, 16, v10
	v_pk_mul_f16 v10, v10, s7
	v_sub_f16_e32 v58, v58, v23
	v_fma_f16 v36, v39, s1, v36
	v_fma_f16 v40, v41, s1, -v40
	v_pk_fma_f16 v63, v37, s6, v10 op_sel:[0,0,1] op_sel_hi:[1,1,0] neg_lo:[0,0,1] neg_hi:[0,0,1]
	v_add_f16_e32 v43, v7, v16
	v_pack_b32_f16 v58, v58, v59
	v_pack_b32_f16 v59, v75, v76
	v_add_f16_e32 v39, v13, v36
	v_add_f16_e32 v41, v15, v40
	v_bfi_b32 v7, s0, v7, v62
	v_bfi_b32 v16, s0, v16, v63
	v_lshlrev_b32_e32 v23, 1, v17
	v_lshl_add_u32 v30, v2, 1, v28
	v_pk_add_f16 v55, v66, v55 op_sel_hi:[0,1]
	ds_write2_b32 v54, v59, v58 offset0:2 offset1:3
	v_pack_b32_f16 v58, v60, v77
	v_sub_f16_e32 v10, v13, v36
	v_sub_f16_e32 v13, v15, v40
	;; [unrolled: 1-line block ×3, first 2 shown]
	v_pack_b32_f16 v36, v39, v41
	v_pk_add_f16 v7, v7, v16 neg_lo:[0,1] neg_hi:[0,1]
	v_pack_b32_f16 v16, v33, v38
	v_add_f16_e32 v53, v34, v48
	v_add_u32_e32 v22, v28, v23
	v_lshl_add_u32 v24, v5, 1, v28
	v_add3_u32 v23, 0, v23, v4
	v_lshl_add_u32 v31, v9, 1, v28
	v_lshl_add_u32 v32, v6, 1, v28
	;; [unrolled: 1-line block ×6, first 2 shown]
	v_pk_add_f16 v66, v55, v57
	ds_write_b32 v54, v58 offset:16
	v_pk_add_f16 v64, v62, v63
	ds_write_b32 v56, v36 offset:4
	ds_write_b16 v56, v10 offset:14
	ds_write_b16 v56, v13 offset:16
	s_waitcnt lgkmcnt(0)
	; wave barrier
	s_waitcnt lgkmcnt(0)
	ds_read_u16 v65, v30
	ds_read_u16 v36, v31
	;; [unrolled: 1-line block ×5, first 2 shown]
	ds_read_u16 v68, v23 offset:320
	ds_read_u16 v69, v23 offset:352
	;; [unrolled: 1-line block ×7, first 2 shown]
	ds_read_u16 v13, v25
	ds_read_u16 v58, v26
	;; [unrolled: 1-line block ×4, first 2 shown]
	ds_read_u16 v71, v23 offset:480
	ds_read_u16 v41, v23 offset:448
	ds_read_u16 v37, v29
	ds_read_u16 v40, v23 offset:608
	s_waitcnt lgkmcnt(0)
	; wave barrier
	s_waitcnt lgkmcnt(0)
	ds_write2_b32 v56, v16, v7 offset0:2 offset1:3
	v_pack_b32_f16 v7, v15, v35
	v_alignbit_b32 v64, v64, v64, 16
	v_pack_b32_f16 v42, v42, v43
	ds_write_b32 v56, v7 offset:16
	v_alignbit_b32 v7, v66, v66, 16
	v_pack_b32_f16 v15, v52, v53
	ds_write2_b32 v56, v42, v64 offset1:1
	ds_write2_b32 v54, v15, v7 offset1:1
	v_bfi_b32 v7, s0, v34, v55
	v_bfi_b32 v15, s0, v48, v57
	v_sub_f16_e32 v44, v55, v57
	v_pk_add_f16 v7, v7, v15 neg_lo:[0,1] neg_hi:[0,1]
	v_pack_b32_f16 v15, v49, v51
	ds_write2_b32 v54, v15, v7 offset0:2 offset1:3
	v_pack_b32_f16 v7, v44, v50
	ds_write_b32 v54, v7 offset:16
	v_add_u32_e32 v7, -10, v17
	v_cmp_gt_u32_e64 s[0:1], 10, v17
	v_cndmask_b32_e64 v51, v7, v17, s[0:1]
	v_mul_i32_i24_e32 v15, 3, v51
	v_mov_b32_e32 v16, 0
	v_lshlrev_b64 v[33:34], 2, v[15:16]
	v_mov_b32_e32 v7, s9
	v_add_co_u32_e64 v33, s[0:1], s8, v33
	v_addc_co_u32_e64 v34, s[0:1], v7, v34, s[0:1]
	s_movk_i32 s0, 0xcd
	s_waitcnt lgkmcnt(0)
	; wave barrier
	s_waitcnt lgkmcnt(0)
	global_load_dwordx3 v[42:44], v[33:34], off
	v_mul_lo_u16_sdwa v15, v8, s0 dst_sel:DWORD dst_unused:UNUSED_PAD src0_sel:BYTE_0 src1_sel:DWORD
	v_lshrrev_b16_e32 v15, 11, v15
	v_mul_lo_u16_e32 v33, 10, v15
	v_sub_u16_e32 v33, v8, v33
	v_mov_b32_e32 v52, 3
	v_mul_u32_u24_sdwa v34, v33, v52 dst_sel:DWORD dst_unused:UNUSED_PAD src0_sel:BYTE_0 src1_sel:DWORD
	v_lshlrev_b32_e32 v34, 2, v34
	global_load_dwordx3 v[48:50], v34, s[8:9]
	ds_read_u16 v34, v30
	ds_read_u16 v53, v31
	;; [unrolled: 1-line block ×4, first 2 shown]
	ds_read_u16 v38, v23 offset:320
	ds_read_u16 v55, v23 offset:352
	;; [unrolled: 1-line block ×10, first 2 shown]
	v_lshlrev_b32_e32 v51, 1, v51
	s_waitcnt vmcnt(1) lgkmcnt(10)
	v_mul_f16_sdwa v74, v35, v42 dst_sel:DWORD dst_unused:UNUSED_PAD src0_sel:DWORD src1_sel:WORD_1
	v_fma_f16 v74, v67, v42, -v74
	v_mul_f16_sdwa v67, v67, v42 dst_sel:DWORD dst_unused:UNUSED_PAD src0_sel:DWORD src1_sel:WORD_1
	v_fma_f16 v67, v35, v42, v67
	s_waitcnt lgkmcnt(9)
	v_mul_f16_sdwa v35, v38, v43 dst_sel:DWORD dst_unused:UNUSED_PAD src0_sel:DWORD src1_sel:WORD_1
	v_fma_f16 v75, v68, v43, -v35
	v_mul_f16_sdwa v35, v68, v43 dst_sel:DWORD dst_unused:UNUSED_PAD src0_sel:DWORD src1_sel:WORD_1
	v_fma_f16 v68, v38, v43, v35
	s_waitcnt lgkmcnt(2)
	v_mul_f16_sdwa v35, v66, v44 dst_sel:DWORD dst_unused:UNUSED_PAD src0_sel:DWORD src1_sel:WORD_1
	v_fma_f16 v76, v71, v44, -v35
	v_mul_f16_sdwa v35, v71, v44 dst_sel:DWORD dst_unused:UNUSED_PAD src0_sel:DWORD src1_sel:WORD_1
	v_fma_f16 v66, v66, v44, v35
	s_waitcnt vmcnt(0)
	v_mul_f16_sdwa v35, v34, v48 dst_sel:DWORD dst_unused:UNUSED_PAD src0_sel:DWORD src1_sel:WORD_1
	v_fma_f16 v71, v65, v48, -v35
	v_mul_f16_sdwa v35, v65, v48 dst_sel:DWORD dst_unused:UNUSED_PAD src0_sel:DWORD src1_sel:WORD_1
	v_fma_f16 v65, v34, v48, v35
	v_mul_f16_sdwa v34, v55, v49 dst_sel:DWORD dst_unused:UNUSED_PAD src0_sel:DWORD src1_sel:WORD_1
	v_fma_f16 v77, v69, v49, -v34
	v_mul_f16_sdwa v34, v69, v49 dst_sel:DWORD dst_unused:UNUSED_PAD src0_sel:DWORD src1_sel:WORD_1
	v_fma_f16 v55, v55, v49, v34
	;; [unrolled: 4-line block ×3, first 2 shown]
	v_mul_lo_u16_sdwa v34, v9, s0 dst_sel:DWORD dst_unused:UNUSED_PAD src0_sel:BYTE_0 src1_sel:DWORD
	v_lshrrev_b16_e32 v34, 11, v34
	v_mul_lo_u16_e32 v35, 10, v34
	v_sub_u16_e32 v35, v9, v35
	v_mul_u32_u24_sdwa v38, v35, v52 dst_sel:DWORD dst_unused:UNUSED_PAD src0_sel:BYTE_0 src1_sel:DWORD
	v_lshlrev_b32_e32 v38, 2, v38
	global_load_dwordx3 v[42:44], v38, s[8:9]
	v_mul_lo_u16_sdwa v38, v11, s0 dst_sel:DWORD dst_unused:UNUSED_PAD src0_sel:BYTE_0 src1_sel:DWORD
	v_lshrrev_b16_e32 v38, 11, v38
	v_mul_lo_u16_e32 v48, 10, v38
	v_sub_u16_e32 v70, v11, v48
	v_mul_u32_u24_sdwa v48, v70, v52 dst_sel:DWORD dst_unused:UNUSED_PAD src0_sel:BYTE_0 src1_sel:DWORD
	v_lshlrev_b32_e32 v48, 2, v48
	global_load_dwordx3 v[48:50], v48, s[8:9]
	v_sub_f16_e32 v69, v71, v69
	v_fma_f16 v71, v71, 2.0, -v69
	v_sub_f16_e32 v62, v65, v62
	v_fma_f16 v65, v65, 2.0, -v62
	s_waitcnt vmcnt(1)
	v_mul_f16_sdwa v78, v54, v42 dst_sel:DWORD dst_unused:UNUSED_PAD src0_sel:DWORD src1_sel:WORD_1
	v_fma_f16 v78, v59, v42, -v78
	v_mul_f16_sdwa v59, v59, v42 dst_sel:DWORD dst_unused:UNUSED_PAD src0_sel:DWORD src1_sel:WORD_1
	v_fma_f16 v54, v54, v42, v59
	v_mul_f16_sdwa v42, v56, v43 dst_sel:DWORD dst_unused:UNUSED_PAD src0_sel:DWORD src1_sel:WORD_1
	v_fma_f16 v59, v60, v43, -v42
	v_mul_f16_sdwa v42, v60, v43 dst_sel:DWORD dst_unused:UNUSED_PAD src0_sel:DWORD src1_sel:WORD_1
	v_fma_f16 v56, v56, v43, v42
	;; [unrolled: 4-line block ×3, first 2 shown]
	ds_read_u16 v42, v26
	ds_read_u16 v63, v27
	;; [unrolled: 1-line block ×3, first 2 shown]
	v_sub_f16_e32 v59, v36, v59
	v_sub_f16_e32 v60, v78, v60
	s_waitcnt vmcnt(0) lgkmcnt(2)
	v_mul_f16_sdwa v43, v42, v48 dst_sel:DWORD dst_unused:UNUSED_PAD src0_sel:DWORD src1_sel:WORD_1
	v_fma_f16 v80, v58, v48, -v43
	v_mul_f16_sdwa v43, v58, v48 dst_sel:DWORD dst_unused:UNUSED_PAD src0_sel:DWORD src1_sel:WORD_1
	v_fma_f16 v48, v42, v48, v43
	v_mul_f16_sdwa v42, v57, v49 dst_sel:DWORD dst_unused:UNUSED_PAD src0_sel:DWORD src1_sel:WORD_1
	v_fma_f16 v58, v47, v49, -v42
	v_mul_f16_sdwa v42, v47, v49 dst_sel:DWORD dst_unused:UNUSED_PAD src0_sel:DWORD src1_sel:WORD_1
	v_fma_f16 v47, v57, v49, v42
	;; [unrolled: 4-line block ×3, first 2 shown]
	v_mul_lo_u16_sdwa v42, v14, s0 dst_sel:DWORD dst_unused:UNUSED_PAD src0_sel:BYTE_0 src1_sel:DWORD
	v_lshrrev_b16_e32 v50, 11, v42
	v_mul_lo_u16_e32 v42, 10, v50
	v_sub_u16_e32 v57, v14, v42
	v_mul_u32_u24_sdwa v42, v57, v52 dst_sel:DWORD dst_unused:UNUSED_PAD src0_sel:BYTE_0 src1_sel:DWORD
	v_lshlrev_b32_e32 v42, 2, v42
	global_load_dwordx3 v[42:44], v42, s[8:9]
	v_cmp_lt_u32_e64 s[0:1], 9, v17
	v_sub_f16_e32 v64, v74, v76
	v_sub_f16_e32 v58, v13, v58
	;; [unrolled: 1-line block ×3, first 2 shown]
	v_fma_f16 v36, v36, 2.0, -v59
	v_fma_f16 v13, v13, 2.0, -v58
	v_sub_f16_e32 v61, v54, v61
	v_sub_f16_e32 v46, v48, v46
	v_sub_f16_e32 v56, v53, v56
	v_fma_f16 v54, v54, 2.0, -v61
	v_sub_f16_e32 v61, v59, v61
	v_fma_f16 v48, v48, 2.0, -v46
	v_sub_f16_e32 v46, v58, v46
	v_fma_f16 v53, v53, 2.0, -v56
	v_fma_f16 v59, v59, 2.0, -v61
	v_fma_f16 v58, v58, 2.0, -v46
	v_sub_f16_e32 v54, v53, v54
	v_fma_f16 v53, v53, 2.0, -v54
	s_waitcnt vmcnt(0) lgkmcnt(0)
	v_mul_f16_sdwa v52, v79, v42 dst_sel:DWORD dst_unused:UNUSED_PAD src0_sel:DWORD src1_sel:WORD_1
	v_fma_f16 v52, v45, v42, -v52
	v_mul_f16_sdwa v45, v45, v42 dst_sel:DWORD dst_unused:UNUSED_PAD src0_sel:DWORD src1_sel:WORD_1
	v_fma_f16 v42, v79, v42, v45
	v_mul_f16_sdwa v45, v72, v43 dst_sel:DWORD dst_unused:UNUSED_PAD src0_sel:DWORD src1_sel:WORD_1
	v_fma_f16 v45, v41, v43, -v45
	v_mul_f16_sdwa v41, v41, v43 dst_sel:DWORD dst_unused:UNUSED_PAD src0_sel:DWORD src1_sel:WORD_1
	v_fma_f16 v41, v72, v43, v41
	;; [unrolled: 4-line block ×3, first 2 shown]
	v_mov_b32_e32 v44, 0x50
	v_cndmask_b32_e64 v44, 0, v44, s[0:1]
	v_add_u32_e32 v44, 0, v44
	v_add3_u32 v44, v44, v51, v4
	v_sub_f16_e32 v51, v39, v75
	v_fma_f16 v39, v39, 2.0, -v51
	v_fma_f16 v72, v74, 2.0, -v64
	v_sub_f16_e32 v72, v39, v72
	v_fma_f16 v39, v39, 2.0, -v72
	ds_read_u16 v73, v29
	ds_read_u16 v74, v22
	;; [unrolled: 1-line block ×3, first 2 shown]
	s_waitcnt lgkmcnt(0)
	; wave barrier
	s_waitcnt lgkmcnt(0)
	ds_write_b16 v44, v39
	v_sub_f16_e32 v39, v67, v66
	v_fma_f16 v66, v67, 2.0, -v39
	v_sub_f16_e32 v39, v51, v39
	v_fma_f16 v51, v51, 2.0, -v39
	ds_write_b16 v44, v51 offset:20
	ds_write_b16 v44, v72 offset:40
	s_movk_i32 s0, 0x50
	ds_write_b16 v44, v39 offset:60
	v_mov_b32_e32 v39, 1
	v_sub_f16_e32 v51, v74, v68
	v_sub_f16_e32 v68, v37, v77
	;; [unrolled: 1-line block ×4, first 2 shown]
	v_mad_u32_u24 v15, v15, s0, 0
	v_lshlrev_b32_sdwa v33, v39, v33 dst_sel:DWORD dst_unused:UNUSED_PAD src0_sel:DWORD src1_sel:BYTE_0
	v_fma_f16 v67, v74, 2.0, -v51
	v_fma_f16 v37, v37, 2.0, -v68
	;; [unrolled: 1-line block ×6, first 2 shown]
	v_add3_u32 v15, v15, v33, v4
	v_mad_u32_u24 v33, v34, s0, 0
	v_lshlrev_b32_sdwa v34, v39, v35 dst_sel:DWORD dst_unused:UNUSED_PAD src0_sel:DWORD src1_sel:BYTE_0
	v_sub_f16_e32 v71, v37, v71
	v_sub_f16_e32 v73, v36, v73
	;; [unrolled: 1-line block ×5, first 2 shown]
	v_add3_u32 v34, v33, v34, v4
	v_mad_u32_u24 v33, v38, s0, 0
	v_lshlrev_b32_sdwa v35, v39, v70 dst_sel:DWORD dst_unused:UNUSED_PAD src0_sel:DWORD src1_sel:BYTE_0
	v_fma_f16 v37, v37, 2.0, -v71
	v_sub_f16_e32 v62, v68, v62
	v_fma_f16 v36, v36, 2.0, -v73
	v_fma_f16 v13, v13, 2.0, -v75
	v_sub_f16_e32 v41, v63, v41
	v_fma_f16 v10, v10, 2.0, -v45
	v_sub_f16_e32 v40, v42, v40
	v_fma_f16 v52, v52, 2.0, -v43
	v_add3_u32 v35, v33, v35, v4
	v_sub_f16_e32 v66, v67, v66
	v_fma_f16 v68, v68, 2.0, -v62
	v_fma_f16 v63, v63, 2.0, -v41
	v_fma_f16 v42, v42, 2.0, -v40
	v_sub_f16_e32 v52, v10, v52
	v_sub_f16_e32 v40, v45, v40
	ds_write_b16 v15, v37
	ds_write_b16 v15, v68 offset:20
	ds_write_b16 v15, v71 offset:40
	ds_write_b16 v15, v62 offset:60
	ds_write_b16 v34, v36
	ds_write_b16 v34, v59 offset:20
	ds_write_b16 v34, v73 offset:40
	ds_write_b16 v34, v61 offset:60
	;; [unrolled: 4-line block ×3, first 2 shown]
	v_mad_u32_u24 v13, v50, s0, 0
	v_lshlrev_b32_sdwa v33, v39, v57 dst_sel:DWORD dst_unused:UNUSED_PAD src0_sel:DWORD src1_sel:BYTE_0
	v_fma_f16 v67, v67, 2.0, -v66
	v_add_f16_e32 v64, v51, v64
	v_sub_f16_e32 v65, v72, v65
	v_add_f16_e32 v69, v55, v69
	v_add_f16_e32 v60, v56, v60
	v_sub_f16_e32 v48, v74, v48
	v_add_f16_e32 v49, v47, v49
	v_sub_f16_e32 v42, v63, v42
	v_fma_f16 v10, v10, 2.0, -v52
	v_add_f16_e32 v43, v41, v43
	v_fma_f16 v45, v45, 2.0, -v40
	v_add3_u32 v36, v13, v33, v4
	v_fma_f16 v51, v51, 2.0, -v64
	v_fma_f16 v72, v72, 2.0, -v65
	;; [unrolled: 1-line block ×8, first 2 shown]
	ds_write_b16 v36, v10
	ds_write_b16 v36, v45 offset:20
	ds_write_b16 v36, v52 offset:40
	;; [unrolled: 1-line block ×3, first 2 shown]
	s_waitcnt lgkmcnt(0)
	; wave barrier
	s_waitcnt lgkmcnt(0)
	ds_read_u16 v45, v30
	ds_read_u16 v13, v31
	;; [unrolled: 1-line block ×5, first 2 shown]
	ds_read_u16 v57, v23 offset:320
	ds_read_u16 v58, v23 offset:352
	;; [unrolled: 1-line block ×7, first 2 shown]
	ds_read_u16 v33, v25
	ds_read_u16 v71, v26
	;; [unrolled: 1-line block ×4, first 2 shown]
	ds_read_u16 v75, v23 offset:480
	ds_read_u16 v76, v23 offset:448
	ds_read_u16 v77, v29
	ds_read_u16 v78, v23 offset:608
	s_waitcnt lgkmcnt(0)
	; wave barrier
	s_waitcnt lgkmcnt(0)
	ds_write_b16 v44, v67
	ds_write_b16 v44, v51 offset:20
	ds_write_b16 v44, v66 offset:40
	ds_write_b16 v44, v64 offset:60
	ds_write_b16 v15, v72
	ds_write_b16 v15, v55 offset:20
	ds_write_b16 v15, v65 offset:40
	ds_write_b16 v15, v69 offset:60
	;; [unrolled: 4-line block ×5, first 2 shown]
	v_mul_u32_u24_e32 v15, 3, v17
	v_lshlrev_b32_e32 v43, 2, v15
	s_waitcnt lgkmcnt(0)
	; wave barrier
	s_waitcnt lgkmcnt(0)
	global_load_dwordx3 v[34:36], v43, s[8:9] offset:120
	v_mul_i32_i24_e32 v15, 3, v8
	v_lshlrev_b64 v[37:38], 2, v[15:16]
	v_add_co_u32_e64 v37, s[0:1], s8, v37
	v_addc_co_u32_e64 v38, s[0:1], v7, v38, s[0:1]
	global_load_dwordx3 v[37:39], v[37:38], off offset:120
	ds_read_u16 v15, v30
	ds_read_u16 v44, v31
	;; [unrolled: 1-line block ×4, first 2 shown]
	ds_read_u16 v49, v23 offset:320
	ds_read_u16 v51, v23 offset:352
	ds_read_u16 v53, v23 offset:384
	ds_read_u16 v54, v23 offset:416
	ds_read_u16 v55, v23 offset:512
	ds_read_u16 v56, v23 offset:544
	ds_read_u16 v60, v23 offset:576
	ds_read_u16 v63, v23 offset:480
	ds_read_u16 v64, v23 offset:448
	ds_read_u16 v65, v23 offset:608
	global_load_dwordx3 v[40:42], v43, s[8:9] offset:216
	v_cmp_gt_u32_e64 s[0:1], 40, v9
	s_waitcnt vmcnt(2) lgkmcnt(10)
	v_mul_f16_sdwa v66, v48, v34 dst_sel:DWORD dst_unused:UNUSED_PAD src0_sel:DWORD src1_sel:WORD_1
	v_fma_f16 v66, v52, v34, -v66
	v_mul_f16_sdwa v52, v52, v34 dst_sel:DWORD dst_unused:UNUSED_PAD src0_sel:DWORD src1_sel:WORD_1
	v_fma_f16 v48, v48, v34, v52
	s_waitcnt lgkmcnt(9)
	v_mul_f16_sdwa v34, v49, v35 dst_sel:DWORD dst_unused:UNUSED_PAD src0_sel:DWORD src1_sel:WORD_1
	v_fma_f16 v52, v57, v35, -v34
	v_mul_f16_sdwa v34, v57, v35 dst_sel:DWORD dst_unused:UNUSED_PAD src0_sel:DWORD src1_sel:WORD_1
	v_fma_f16 v49, v49, v35, v34
	s_waitcnt lgkmcnt(2)
	v_mul_f16_sdwa v34, v63, v36 dst_sel:DWORD dst_unused:UNUSED_PAD src0_sel:DWORD src1_sel:WORD_1
	v_fma_f16 v57, v75, v36, -v34
	v_mul_f16_sdwa v34, v75, v36 dst_sel:DWORD dst_unused:UNUSED_PAD src0_sel:DWORD src1_sel:WORD_1
	v_fma_f16 v63, v63, v36, v34
	global_load_dwordx3 v[34:36], v43, s[8:9] offset:408
	s_waitcnt vmcnt(2)
	v_mul_f16_sdwa v43, v15, v37 dst_sel:DWORD dst_unused:UNUSED_PAD src0_sel:DWORD src1_sel:WORD_1
	v_fma_f16 v43, v45, v37, -v43
	v_mul_f16_sdwa v45, v45, v37 dst_sel:DWORD dst_unused:UNUSED_PAD src0_sel:DWORD src1_sel:WORD_1
	v_fma_f16 v45, v15, v37, v45
	v_mul_f16_sdwa v15, v51, v38 dst_sel:DWORD dst_unused:UNUSED_PAD src0_sel:DWORD src1_sel:WORD_1
	v_fma_f16 v67, v58, v38, -v15
	v_mul_f16_sdwa v15, v58, v38 dst_sel:DWORD dst_unused:UNUSED_PAD src0_sel:DWORD src1_sel:WORD_1
	v_fma_f16 v51, v51, v38, v15
	;; [unrolled: 4-line block ×3, first 2 shown]
	v_add_u32_e32 v15, -8, v17
	v_cndmask_b32_e64 v62, v15, v9, s[0:1]
	v_mul_i32_i24_e32 v15, 3, v62
	v_lshlrev_b64 v[37:38], 2, v[15:16]
	v_sub_f16_e32 v52, v50, v52
	v_add_co_u32_e64 v37, s[0:1], s8, v37
	v_addc_co_u32_e64 v38, s[0:1], v7, v38, s[0:1]
	global_load_dwordx3 v[37:39], v[37:38], off offset:120
	ds_read_u16 v7, v29
	v_sub_f16_e32 v57, v66, v57
	v_fma_f16 v50, v50, 2.0, -v52
	v_sub_f16_e32 v63, v48, v63
	v_fma_f16 v48, v48, 2.0, -v63
	v_sub_f16_e32 v58, v43, v58
	v_cmp_lt_u32_e64 s[0:1], 39, v9
	v_sub_f16_e32 v55, v45, v55
	v_fma_f16 v43, v43, 2.0, -v58
	v_fma_f16 v45, v45, 2.0, -v55
	s_waitcnt vmcnt(0)
	v_mul_f16_sdwa v15, v47, v37 dst_sel:DWORD dst_unused:UNUSED_PAD src0_sel:DWORD src1_sel:WORD_1
	v_fma_f16 v15, v46, v37, -v15
	v_mul_f16_sdwa v46, v46, v37 dst_sel:DWORD dst_unused:UNUSED_PAD src0_sel:DWORD src1_sel:WORD_1
	v_fma_f16 v37, v47, v37, v46
	v_mul_f16_sdwa v46, v53, v38 dst_sel:DWORD dst_unused:UNUSED_PAD src0_sel:DWORD src1_sel:WORD_1
	v_fma_f16 v46, v59, v38, -v46
	v_mul_f16_sdwa v47, v59, v38 dst_sel:DWORD dst_unused:UNUSED_PAD src0_sel:DWORD src1_sel:WORD_1
	ds_read_u16 v59, v26
	v_fma_f16 v38, v53, v38, v47
	v_mul_f16_sdwa v47, v56, v39 dst_sel:DWORD dst_unused:UNUSED_PAD src0_sel:DWORD src1_sel:WORD_1
	v_mul_f16_sdwa v53, v68, v39 dst_sel:DWORD dst_unused:UNUSED_PAD src0_sel:DWORD src1_sel:WORD_1
	v_fma_f16 v47, v68, v39, -v47
	s_waitcnt lgkmcnt(0)
	v_mul_f16_sdwa v69, v59, v40 dst_sel:DWORD dst_unused:UNUSED_PAD src0_sel:DWORD src1_sel:WORD_1
	v_fma_f16 v69, v71, v40, -v69
	v_mul_f16_sdwa v71, v71, v40 dst_sel:DWORD dst_unused:UNUSED_PAD src0_sel:DWORD src1_sel:WORD_1
	v_fma_f16 v40, v59, v40, v71
	v_mul_f16_sdwa v59, v54, v41 dst_sel:DWORD dst_unused:UNUSED_PAD src0_sel:DWORD src1_sel:WORD_1
	v_fma_f16 v59, v61, v41, -v59
	v_mul_f16_sdwa v61, v61, v41 dst_sel:DWORD dst_unused:UNUSED_PAD src0_sel:DWORD src1_sel:WORD_1
	v_fma_f16 v39, v56, v39, v53
	ds_read_u16 v53, v22
	ds_read_u16 v56, v27
	;; [unrolled: 1-line block ×3, first 2 shown]
	v_fma_f16 v41, v54, v41, v61
	v_mul_f16_sdwa v54, v60, v42 dst_sel:DWORD dst_unused:UNUSED_PAD src0_sel:DWORD src1_sel:WORD_1
	v_mul_f16_sdwa v61, v70, v42 dst_sel:DWORD dst_unused:UNUSED_PAD src0_sel:DWORD src1_sel:WORD_1
	v_fma_f16 v54, v70, v42, -v54
	v_fma_f16 v42, v60, v42, v61
	ds_read_u16 v60, v25
	v_sub_f16_e32 v38, v44, v38
	v_sub_f16_e32 v39, v37, v39
	s_waitcnt lgkmcnt(1)
	v_mul_f16_sdwa v61, v68, v34 dst_sel:DWORD dst_unused:UNUSED_PAD src0_sel:DWORD src1_sel:WORD_1
	v_mul_f16_sdwa v70, v73, v34 dst_sel:DWORD dst_unused:UNUSED_PAD src0_sel:DWORD src1_sel:WORD_1
	v_fma_f16 v44, v44, 2.0, -v38
	v_fma_f16 v37, v37, 2.0, -v39
	v_fma_f16 v61, v73, v34, -v61
	v_fma_f16 v34, v68, v34, v70
	v_mul_f16_sdwa v68, v64, v35 dst_sel:DWORD dst_unused:UNUSED_PAD src0_sel:DWORD src1_sel:WORD_1
	v_mul_f16_sdwa v70, v76, v35 dst_sel:DWORD dst_unused:UNUSED_PAD src0_sel:DWORD src1_sel:WORD_1
	v_sub_f16_e32 v46, v13, v46
	v_sub_f16_e32 v71, v44, v37
	s_waitcnt lgkmcnt(0)
	v_sub_f16_e32 v41, v60, v41
	v_sub_f16_e32 v42, v40, v42
	v_fma_f16 v68, v76, v35, -v68
	v_fma_f16 v35, v64, v35, v70
	v_mul_f16_sdwa v64, v65, v36 dst_sel:DWORD dst_unused:UNUSED_PAD src0_sel:DWORD src1_sel:WORD_1
	v_sub_f16_e32 v47, v15, v47
	v_fma_f16 v72, v44, 2.0, -v71
	v_sub_f16_e32 v37, v46, v39
	v_fma_f16 v44, v60, 2.0, -v41
	v_fma_f16 v40, v40, 2.0, -v42
	v_fma_f16 v64, v78, v36, -v64
	v_mul_f16_sdwa v70, v78, v36 dst_sel:DWORD dst_unused:UNUSED_PAD src0_sel:DWORD src1_sel:WORD_1
	v_fma_f16 v13, v13, 2.0, -v46
	v_add_f16_e32 v73, v38, v47
	v_fma_f16 v39, v46, 2.0, -v37
	v_sub_f16_e32 v46, v69, v54
	v_sub_f16_e32 v54, v44, v40
	v_fma_f16 v36, v65, v36, v70
	v_sub_f16_e32 v49, v53, v49
	v_fma_f16 v65, v66, 2.0, -v57
	v_fma_f16 v74, v38, 2.0, -v73
	v_sub_f16_e32 v38, v33, v59
	v_fma_f16 v59, v44, 2.0, -v54
	v_sub_f16_e32 v35, v56, v35
	v_sub_f16_e32 v44, v61, v64
	v_fma_f16 v53, v53, 2.0, -v49
	v_sub_f16_e32 v65, v50, v65
	v_add_f16_e32 v57, v49, v57
	v_add_f16_e32 v60, v41, v46
	v_sub_f16_e32 v36, v34, v36
	v_add_f16_e32 v64, v35, v44
	v_sub_f16_e32 v66, v53, v48
	v_fma_f16 v48, v50, 2.0, -v65
	v_sub_f16_e32 v50, v52, v63
	v_fma_f16 v63, v49, 2.0, -v57
	;; [unrolled: 2-line block ×3, first 2 shown]
	v_fma_f16 v47, v69, 2.0, -v46
	v_sub_f16_e32 v40, v38, v42
	v_fma_f16 v69, v41, 2.0, -v60
	v_sub_f16_e32 v41, v10, v68
	v_fma_f16 v42, v56, 2.0, -v35
	v_fma_f16 v34, v34, 2.0, -v36
	;; [unrolled: 1-line block ×3, first 2 shown]
	v_mov_b32_e32 v35, 0x140
	v_sub_f16_e32 v51, v7, v51
	v_fma_f16 v67, v77, 2.0, -v49
	v_fma_f16 v33, v33, 2.0, -v38
	v_sub_f16_e32 v56, v42, v34
	v_sub_f16_e32 v34, v41, v36
	v_cndmask_b32_e64 v35, 0, v35, s[0:1]
	v_fma_f16 v7, v7, 2.0, -v51
	v_sub_f16_e32 v43, v67, v43
	v_sub_f16_e32 v55, v49, v55
	;; [unrolled: 1-line block ×4, first 2 shown]
	v_fma_f16 v10, v10, 2.0, -v41
	v_fma_f16 v46, v61, 2.0, -v44
	;; [unrolled: 1-line block ×3, first 2 shown]
	v_add_u32_e32 v35, 0, v35
	v_lshlrev_b32_e32 v41, 1, v62
	v_fma_f16 v52, v52, 2.0, -v50
	v_sub_f16_e32 v70, v7, v45
	v_fma_f16 v45, v67, 2.0, -v43
	v_add_f16_e32 v58, v51, v58
	v_fma_f16 v49, v49, 2.0, -v55
	v_fma_f16 v13, v13, 2.0, -v15
	;; [unrolled: 1-line block ×4, first 2 shown]
	v_sub_f16_e32 v46, v10, v46
	v_add3_u32 v4, v35, v41, v4
	v_fma_f16 v67, v51, 2.0, -v58
	v_fma_f16 v10, v10, 2.0, -v46
	;; [unrolled: 1-line block ×3, first 2 shown]
	s_waitcnt lgkmcnt(0)
	; wave barrier
	ds_write_b16 v23, v48
	ds_write_b16 v23, v52 offset:80
	ds_write_b16 v23, v65 offset:160
	ds_write_b16 v23, v50 offset:240
	ds_write_b16 v29, v45
	ds_write_b16 v29, v49 offset:80
	ds_write_b16 v29, v43 offset:160
	ds_write_b16 v29, v55 offset:240
	;; [unrolled: 4-line block ×3, first 2 shown]
	ds_write_b16 v23, v33 offset:336
	ds_write_b16 v23, v38 offset:416
	;; [unrolled: 1-line block ×8, first 2 shown]
	s_waitcnt lgkmcnt(0)
	; wave barrier
	s_waitcnt lgkmcnt(0)
	ds_read_u16 v33, v22
	ds_read_u16 v37, v25
	ds_read_u16 v35, v23 offset:352
	ds_read_u16 v36, v23 offset:384
	;; [unrolled: 1-line block ×6, first 2 shown]
	ds_read_u16 v43, v24
	ds_read_u16 v46, v32
	;; [unrolled: 1-line block ×7, first 2 shown]
	ds_read_u16 v47, v23 offset:512
	ds_read_u16 v48, v23 offset:544
	;; [unrolled: 1-line block ×3, first 2 shown]
	ds_read_u16 v41, v29
	ds_read_u16 v52, v23 offset:608
	v_fma_f16 v53, v53, 2.0, -v66
	v_fma_f16 v7, v7, 2.0, -v70
	s_waitcnt lgkmcnt(0)
	; wave barrier
	s_waitcnt lgkmcnt(0)
	ds_write_b16 v23, v53
	ds_write_b16 v23, v63 offset:80
	ds_write_b16 v23, v66 offset:160
	ds_write_b16 v23, v57 offset:240
	ds_write_b16 v29, v7
	ds_write_b16 v29, v67 offset:80
	ds_write_b16 v29, v70 offset:160
	ds_write_b16 v29, v58 offset:240
	;; [unrolled: 4-line block ×3, first 2 shown]
	ds_write_b16 v23, v59 offset:336
	ds_write_b16 v23, v69 offset:416
	;; [unrolled: 1-line block ×8, first 2 shown]
	s_waitcnt lgkmcnt(0)
	; wave barrier
	s_waitcnt lgkmcnt(0)
	s_and_saveexec_b64 s[0:1], vcc
	s_cbranch_execz .LBB0_15
; %bb.14:
	v_mov_b32_e32 v13, v16
	v_lshlrev_b64 v[12:13], 2, v[12:13]
	v_mov_b32_e32 v4, v16
	v_mov_b32_e32 v53, s9
	v_add_co_u32_e32 v12, vcc, s8, v12
	v_lshlrev_b64 v[3:4], 2, v[3:4]
	v_addc_co_u32_e32 v13, vcc, v53, v13, vcc
	global_load_dword v13, v[12:13], off offset:600
	v_add_co_u32_e32 v3, vcc, s8, v3
	v_addc_co_u32_e32 v4, vcc, v53, v4, vcc
	global_load_dword v54, v[3:4], off offset:600
	v_mov_b32_e32 v7, v16
	v_lshlrev_b64 v[3:4], 2, v[6:7]
	v_mov_b32_e32 v6, v16
	v_add_co_u32_e32 v3, vcc, s8, v3
	v_addc_co_u32_e32 v4, vcc, v53, v4, vcc
	global_load_dword v4, v[3:4], off offset:600
	v_mov_b32_e32 v3, v16
	v_lshlrev_b64 v[2:3], 2, v[2:3]
	v_mov_b32_e32 v15, v16
	v_add_co_u32_e32 v2, vcc, s8, v2
	v_addc_co_u32_e32 v3, vcc, v53, v3, vcc
	global_load_dword v7, v[2:3], off offset:600
	v_lshlrev_b64 v[2:3], 2, v[5:6]
	v_mov_b32_e32 v12, v16
	v_add_co_u32_e32 v2, vcc, s8, v2
	v_addc_co_u32_e32 v3, vcc, v53, v3, vcc
	global_load_dword v5, v[2:3], off offset:600
	v_lshlrev_b64 v[2:3], 2, v[14:15]
	ds_read_u16 v6, v32
	ds_read_u16 v31, v31
	v_add_co_u32_e32 v2, vcc, s8, v2
	v_addc_co_u32_e32 v3, vcc, v53, v3, vcc
	global_load_dword v14, v[2:3], off offset:600
	v_lshlrev_b64 v[2:3], 2, v[11:12]
	v_mov_b32_e32 v10, v16
	v_add_co_u32_e32 v2, vcc, s8, v2
	v_addc_co_u32_e32 v3, vcc, v53, v3, vcc
	ds_read_u16 v15, v30
	ds_read_u16 v29, v29
	global_load_dword v11, v[2:3], off offset:600
	v_lshlrev_b64 v[2:3], 2, v[9:10]
	v_mov_b32_e32 v9, v16
	v_add_co_u32_e32 v2, vcc, s8, v2
	v_addc_co_u32_e32 v3, vcc, v53, v3, vcc
	global_load_dword v10, v[2:3], off offset:600
	v_lshlrev_b64 v[2:3], 2, v[8:9]
	ds_read_u16 v12, v23 offset:608
	ds_read_u16 v30, v23 offset:576
	;; [unrolled: 1-line block ×3, first 2 shown]
	v_add_co_u32_e32 v2, vcc, s8, v2
	v_addc_co_u32_e32 v3, vcc, v53, v3, vcc
	global_load_dword v2, v[2:3], off offset:600
	v_lshlrev_b32_e32 v9, 2, v17
	ds_read_u16 v3, v28
	ds_read_u16 v8, v27
	global_load_dword v9, v9, s[8:9] offset:600
	ds_read_u16 v25, v25
	s_waitcnt vmcnt(9)
	v_mul_f16_sdwa v27, v52, v13 dst_sel:DWORD dst_unused:UNUSED_PAD src0_sel:DWORD src1_sel:WORD_1
	s_waitcnt lgkmcnt(5)
	v_mul_f16_sdwa v16, v12, v13 dst_sel:DWORD dst_unused:UNUSED_PAD src0_sel:DWORD src1_sel:WORD_1
	v_fma_f16 v12, v13, v12, v27
	s_waitcnt lgkmcnt(2)
	v_sub_f16_e32 v12, v3, v12
	v_fma_f16 v16, v52, v13, -v16
	s_waitcnt vmcnt(8)
	v_mul_f16_sdwa v28, v30, v54 dst_sel:DWORD dst_unused:UNUSED_PAD src0_sel:DWORD src1_sel:WORD_1
	v_fma_f16 v13, v51, v54, -v28
	v_fma_f16 v28, v3, 2.0, -v12
	ds_read_u16 v3, v26
	v_sub_f16_e32 v13, v49, v13
	v_fma_f16 v26, v49, 2.0, -v13
	v_mul_f16_sdwa v49, v51, v54 dst_sel:DWORD dst_unused:UNUSED_PAD src0_sel:DWORD src1_sel:WORD_1
	v_fma_f16 v30, v54, v30, v49
	s_waitcnt lgkmcnt(0)
	v_sub_f16_e32 v30, v3, v30
	v_fma_f16 v49, v3, 2.0, -v30
	ds_read_u16 v3, v23 offset:512
	v_sub_f16_e32 v16, v50, v16
	v_fma_f16 v27, v50, 2.0, -v16
	s_waitcnt vmcnt(7)
	v_mul_f16_sdwa v50, v32, v4 dst_sel:DWORD dst_unused:UNUSED_PAD src0_sel:DWORD src1_sel:WORD_1
	v_fma_f16 v50, v48, v4, -v50
	v_mul_f16_sdwa v48, v48, v4 dst_sel:DWORD dst_unused:UNUSED_PAD src0_sel:DWORD src1_sel:WORD_1
	v_fma_f16 v4, v4, v32, v48
	v_sub_f16_e32 v32, v6, v4
	s_waitcnt vmcnt(6) lgkmcnt(0)
	v_mul_f16_sdwa v4, v3, v7 dst_sel:DWORD dst_unused:UNUSED_PAD src0_sel:DWORD src1_sel:WORD_1
	v_fma_f16 v4, v47, v7, -v4
	v_sub_f16_e32 v48, v45, v4
	v_mul_f16_sdwa v4, v47, v7 dst_sel:DWORD dst_unused:UNUSED_PAD src0_sel:DWORD src1_sel:WORD_1
	ds_read_u16 v47, v23 offset:480
	v_fma_f16 v3, v7, v3, v4
	v_sub_f16_e32 v7, v15, v3
	ds_read_u16 v3, v23 offset:448
	v_fma_f16 v45, v45, 2.0, -v48
	s_waitcnt vmcnt(5) lgkmcnt(1)
	v_mul_f16_sdwa v4, v47, v5 dst_sel:DWORD dst_unused:UNUSED_PAD src0_sel:DWORD src1_sel:WORD_1
	v_fma_f16 v4, v42, v5, -v4
	v_sub_f16_e32 v51, v43, v4
	v_mul_f16_sdwa v4, v42, v5 dst_sel:DWORD dst_unused:UNUSED_PAD src0_sel:DWORD src1_sel:WORD_1
	v_fma_f16 v4, v5, v47, v4
	ds_read_u16 v5, v24
	ds_read_u16 v24, v23 offset:320
	ds_read_u16 v42, v23 offset:416
	;; [unrolled: 1-line block ×4, first 2 shown]
	ds_read_u16 v22, v22
	s_waitcnt lgkmcnt(5)
	v_sub_f16_e32 v52, v5, v4
	s_waitcnt vmcnt(4)
	v_mul_f16_sdwa v4, v3, v14 dst_sel:DWORD dst_unused:UNUSED_PAD src0_sel:DWORD src1_sel:WORD_1
	v_fma_f16 v4, v40, v14, -v4
	v_sub_f16_e32 v54, v44, v4
	v_mul_f16_sdwa v4, v40, v14 dst_sel:DWORD dst_unused:UNUSED_PAD src0_sel:DWORD src1_sel:WORD_1
	v_fma_f16 v3, v14, v3, v4
	v_sub_f16_e32 v14, v8, v3
	s_waitcnt vmcnt(3) lgkmcnt(3)
	v_mul_f16_sdwa v3, v42, v11 dst_sel:DWORD dst_unused:UNUSED_PAD src0_sel:DWORD src1_sel:WORD_1
	v_fma_f16 v3, v38, v11, -v3
	v_sub_f16_e32 v40, v37, v3
	v_mul_f16_sdwa v3, v38, v11 dst_sel:DWORD dst_unused:UNUSED_PAD src0_sel:DWORD src1_sel:WORD_1
	v_fma_f16 v3, v11, v42, v3
	v_sub_f16_e32 v11, v25, v3
	s_waitcnt vmcnt(2) lgkmcnt(2)
	;; [unrolled: 7-line block ×3, first 2 shown]
	v_mul_f16_sdwa v3, v23, v2 dst_sel:DWORD dst_unused:UNUSED_PAD src0_sel:DWORD src1_sel:WORD_1
	v_fma_f16 v3, v35, v2, -v3
	v_sub_f16_e32 v36, v41, v3
	v_mul_f16_sdwa v3, v35, v2 dst_sel:DWORD dst_unused:UNUSED_PAD src0_sel:DWORD src1_sel:WORD_1
	v_fma_f16 v2, v2, v23, v3
	v_sub_f16_e32 v23, v29, v2
	s_waitcnt vmcnt(0)
	v_mul_f16_sdwa v2, v24, v9 dst_sel:DWORD dst_unused:UNUSED_PAD src0_sel:DWORD src1_sel:WORD_1
	v_fma_f16 v4, v34, v9, -v2
	v_mad_u64_u32 v[2:3], s[0:1], s2, v17, 0
	v_fma_f16 v53, v5, 2.0, -v52
	v_sub_f16_e32 v35, v33, v4
	v_mul_f16_sdwa v5, v34, v9 dst_sel:DWORD dst_unused:UNUSED_PAD src0_sel:DWORD src1_sel:WORD_1
	v_mad_u64_u32 v[3:4], s[0:1], s3, v17, v[3:4]
	v_fma_f16 v4, v9, v24, v5
	v_or_b32_e32 v34, 0xa0, v17
	s_waitcnt lgkmcnt(0)
	v_sub_f16_e32 v9, v22, v4
	v_mad_u64_u32 v[4:5], s[0:1], s2, v34, 0
	v_mov_b32_e32 v24, s13
	v_add_co_u32_e32 v42, vcc, s12, v0
	v_addc_co_u32_e32 v24, vcc, v24, v1, vcc
	v_lshlrev_b64 v[0:1], 2, v[2:3]
	v_mov_b32_e32 v2, v5
	v_mad_u64_u32 v[2:3], s[0:1], s3, v34, v[2:3]
	v_fma_f16 v33, v33, 2.0, -v35
	v_fma_f16 v22, v22, 2.0, -v9
	v_add_co_u32_e32 v0, vcc, v42, v0
	v_addc_co_u32_e32 v1, vcc, v24, v1, vcc
	v_pack_b32_f16 v3, v33, v22
	global_store_dword v[0:1], v3, off
	v_mov_b32_e32 v5, v2
	v_mad_u64_u32 v[2:3], s[0:1], s2, v21, 0
	v_lshlrev_b64 v[0:1], 2, v[4:5]
	v_pack_b32_f16 v9, v35, v9
	v_mad_u64_u32 v[3:4], s[0:1], s3, v21, v[3:4]
	v_or_b32_e32 v21, 0xb0, v17
	v_mad_u64_u32 v[4:5], s[0:1], s2, v21, 0
	v_add_co_u32_e32 v0, vcc, v42, v0
	v_addc_co_u32_e32 v1, vcc, v24, v1, vcc
	global_store_dword v[0:1], v9, off
	v_lshlrev_b64 v[0:1], 2, v[2:3]
	v_mov_b32_e32 v2, v5
	v_mad_u64_u32 v[2:3], s[0:1], s3, v21, v[2:3]
	v_fma_f16 v41, v41, 2.0, -v36
	v_fma_f16 v29, v29, 2.0, -v23
	v_add_co_u32_e32 v0, vcc, v42, v0
	v_addc_co_u32_e32 v1, vcc, v24, v1, vcc
	v_pack_b32_f16 v3, v41, v29
	global_store_dword v[0:1], v3, off
	v_mov_b32_e32 v5, v2
	v_mad_u64_u32 v[2:3], s[0:1], s2, v20, 0
	v_lshlrev_b64 v[0:1], 2, v[4:5]
	v_pack_b32_f16 v9, v36, v23
	v_mad_u64_u32 v[3:4], s[0:1], s3, v20, v[3:4]
	v_or_b32_e32 v20, 0xc0, v17
	v_mad_u64_u32 v[4:5], s[0:1], s2, v20, 0
	v_add_co_u32_e32 v0, vcc, v42, v0
	v_addc_co_u32_e32 v1, vcc, v24, v1, vcc
	global_store_dword v[0:1], v9, off
	;; [unrolled: 19-line block ×3, first 2 shown]
	v_lshlrev_b64 v[0:1], 2, v[2:3]
	v_mov_b32_e32 v2, v5
	v_mad_u64_u32 v[2:3], s[0:1], s3, v10, v[2:3]
	v_fma_f16 v37, v37, 2.0, -v40
	v_fma_f16 v25, v25, 2.0, -v11
	v_add_co_u32_e32 v0, vcc, v42, v0
	v_addc_co_u32_e32 v1, vcc, v24, v1, vcc
	v_pack_b32_f16 v3, v37, v25
	global_store_dword v[0:1], v3, off
	v_mov_b32_e32 v5, v2
	v_mad_u64_u32 v[2:3], s[0:1], s2, v18, 0
	v_lshlrev_b64 v[0:1], 2, v[4:5]
	v_or_b32_e32 v10, 0xe0, v17
	v_mad_u64_u32 v[3:4], s[0:1], s3, v18, v[3:4]
	v_mad_u64_u32 v[4:5], s[0:1], s2, v10, 0
	v_add_co_u32_e32 v0, vcc, v42, v0
	v_addc_co_u32_e32 v1, vcc, v24, v1, vcc
	v_pack_b32_f16 v9, v40, v11
	global_store_dword v[0:1], v9, off
	v_lshlrev_b64 v[0:1], 2, v[2:3]
	v_mov_b32_e32 v2, v5
	v_mad_u64_u32 v[2:3], s[0:1], s3, v10, v[2:3]
	v_fma_f16 v44, v44, 2.0, -v54
	v_fma_f16 v8, v8, 2.0, -v14
	v_add_co_u32_e32 v0, vcc, v42, v0
	v_addc_co_u32_e32 v1, vcc, v24, v1, vcc
	v_pack_b32_f16 v3, v44, v8
	v_mov_b32_e32 v5, v2
	global_store_dword v[0:1], v3, off
	v_lshlrev_b64 v[0:1], 2, v[4:5]
	v_or_b32_e32 v4, 0x50, v17
	v_mad_u64_u32 v[2:3], s[0:1], s2, v4, 0
	v_or_b32_e32 v9, 0xf0, v17
	v_add_co_u32_e32 v0, vcc, v42, v0
	v_mad_u64_u32 v[3:4], s[0:1], s3, v4, v[3:4]
	v_mad_u64_u32 v[4:5], s[0:1], s2, v9, 0
	v_addc_co_u32_e32 v1, vcc, v24, v1, vcc
	v_pack_b32_f16 v8, v54, v14
	global_store_dword v[0:1], v8, off
	v_lshlrev_b64 v[0:1], 2, v[2:3]
	v_mov_b32_e32 v2, v5
	v_mad_u64_u32 v[2:3], s[0:1], s3, v9, v[2:3]
	v_fma_f16 v43, v43, 2.0, -v51
	v_add_co_u32_e32 v0, vcc, v42, v0
	v_addc_co_u32_e32 v1, vcc, v24, v1, vcc
	v_pack_b32_f16 v3, v43, v53
	v_mov_b32_e32 v5, v2
	global_store_dword v[0:1], v3, off
	v_lshlrev_b64 v[0:1], 2, v[4:5]
	v_or_b32_e32 v4, 0x60, v17
	v_mad_u64_u32 v[2:3], s[0:1], s2, v4, 0
	v_or_b32_e32 v9, 0x100, v17
	v_add_co_u32_e32 v0, vcc, v42, v0
	v_mad_u64_u32 v[3:4], s[0:1], s3, v4, v[3:4]
	v_mad_u64_u32 v[4:5], s[0:1], s2, v9, 0
	v_addc_co_u32_e32 v1, vcc, v24, v1, vcc
	v_pack_b32_f16 v8, v51, v52
	global_store_dword v[0:1], v8, off
	v_lshlrev_b64 v[0:1], 2, v[2:3]
	v_mov_b32_e32 v2, v5
	v_mad_u64_u32 v[2:3], s[0:1], s3, v9, v[2:3]
	;; [unrolled: 19-line block ×3, first 2 shown]
	v_sub_f16_e32 v50, v46, v50
	v_fma_f16 v46, v46, 2.0, -v50
	v_fma_f16 v6, v6, 2.0, -v32
	v_add_co_u32_e32 v0, vcc, v42, v0
	v_addc_co_u32_e32 v1, vcc, v24, v1, vcc
	v_pack_b32_f16 v3, v46, v6
	v_mov_b32_e32 v5, v2
	global_store_dword v[0:1], v3, off
	v_lshlrev_b64 v[0:1], 2, v[4:5]
	v_or_b32_e32 v4, 0x80, v17
	v_mad_u64_u32 v[2:3], s[0:1], s2, v4, 0
	v_or_b32_e32 v7, 0x120, v17
	v_add_co_u32_e32 v0, vcc, v42, v0
	v_mad_u64_u32 v[3:4], s[0:1], s3, v4, v[3:4]
	v_mad_u64_u32 v[4:5], s[0:1], s2, v7, 0
	v_addc_co_u32_e32 v1, vcc, v24, v1, vcc
	v_pack_b32_f16 v6, v50, v32
	global_store_dword v[0:1], v6, off
	v_lshlrev_b64 v[0:1], 2, v[2:3]
	v_mov_b32_e32 v2, v5
	v_mad_u64_u32 v[2:3], s[0:1], s3, v7, v[2:3]
	v_add_co_u32_e32 v0, vcc, v42, v0
	v_addc_co_u32_e32 v1, vcc, v24, v1, vcc
	v_pack_b32_f16 v3, v26, v49
	v_mov_b32_e32 v5, v2
	global_store_dword v[0:1], v3, off
	v_lshlrev_b64 v[0:1], 2, v[4:5]
	v_or_b32_e32 v4, 0x90, v17
	v_mad_u64_u32 v[2:3], s[0:1], s2, v4, 0
	v_or_b32_e32 v7, 0x130, v17
	v_add_co_u32_e32 v0, vcc, v42, v0
	v_mad_u64_u32 v[3:4], s[0:1], s3, v4, v[3:4]
	v_mad_u64_u32 v[4:5], s[0:1], s2, v7, 0
	v_addc_co_u32_e32 v1, vcc, v24, v1, vcc
	v_pack_b32_f16 v6, v13, v30
	global_store_dword v[0:1], v6, off
	v_lshlrev_b64 v[0:1], 2, v[2:3]
	v_mov_b32_e32 v2, v5
	v_mad_u64_u32 v[2:3], s[0:1], s3, v7, v[2:3]
	v_add_co_u32_e32 v0, vcc, v42, v0
	v_addc_co_u32_e32 v1, vcc, v24, v1, vcc
	v_pack_b32_f16 v3, v27, v28
	v_mov_b32_e32 v5, v2
	global_store_dword v[0:1], v3, off
	v_lshlrev_b64 v[0:1], 2, v[4:5]
	v_pack_b32_f16 v2, v16, v12
	v_add_co_u32_e32 v0, vcc, v42, v0
	v_addc_co_u32_e32 v1, vcc, v24, v1, vcc
	global_store_dword v[0:1], v2, off
.LBB0_15:
	s_endpgm
	.section	.rodata,"a",@progbits
	.p2align	6, 0x0
	.amdhsa_kernel fft_rtc_fwd_len320_factors_10_4_4_2_wgs_64_tpt_16_halfLds_half_ip_CI_sbrr_dirReg
		.amdhsa_group_segment_fixed_size 0
		.amdhsa_private_segment_fixed_size 0
		.amdhsa_kernarg_size 88
		.amdhsa_user_sgpr_count 6
		.amdhsa_user_sgpr_private_segment_buffer 1
		.amdhsa_user_sgpr_dispatch_ptr 0
		.amdhsa_user_sgpr_queue_ptr 0
		.amdhsa_user_sgpr_kernarg_segment_ptr 1
		.amdhsa_user_sgpr_dispatch_id 0
		.amdhsa_user_sgpr_flat_scratch_init 0
		.amdhsa_user_sgpr_private_segment_size 0
		.amdhsa_uses_dynamic_stack 0
		.amdhsa_system_sgpr_private_segment_wavefront_offset 0
		.amdhsa_system_sgpr_workgroup_id_x 1
		.amdhsa_system_sgpr_workgroup_id_y 0
		.amdhsa_system_sgpr_workgroup_id_z 0
		.amdhsa_system_sgpr_workgroup_info 0
		.amdhsa_system_vgpr_workitem_id 0
		.amdhsa_next_free_vgpr 81
		.amdhsa_next_free_sgpr 24
		.amdhsa_reserve_vcc 1
		.amdhsa_reserve_flat_scratch 0
		.amdhsa_float_round_mode_32 0
		.amdhsa_float_round_mode_16_64 0
		.amdhsa_float_denorm_mode_32 3
		.amdhsa_float_denorm_mode_16_64 3
		.amdhsa_dx10_clamp 1
		.amdhsa_ieee_mode 1
		.amdhsa_fp16_overflow 0
		.amdhsa_exception_fp_ieee_invalid_op 0
		.amdhsa_exception_fp_denorm_src 0
		.amdhsa_exception_fp_ieee_div_zero 0
		.amdhsa_exception_fp_ieee_overflow 0
		.amdhsa_exception_fp_ieee_underflow 0
		.amdhsa_exception_fp_ieee_inexact 0
		.amdhsa_exception_int_div_zero 0
	.end_amdhsa_kernel
	.text
.Lfunc_end0:
	.size	fft_rtc_fwd_len320_factors_10_4_4_2_wgs_64_tpt_16_halfLds_half_ip_CI_sbrr_dirReg, .Lfunc_end0-fft_rtc_fwd_len320_factors_10_4_4_2_wgs_64_tpt_16_halfLds_half_ip_CI_sbrr_dirReg
                                        ; -- End function
	.section	.AMDGPU.csdata,"",@progbits
; Kernel info:
; codeLenInByte = 11096
; NumSgprs: 28
; NumVgprs: 81
; ScratchSize: 0
; MemoryBound: 0
; FloatMode: 240
; IeeeMode: 1
; LDSByteSize: 0 bytes/workgroup (compile time only)
; SGPRBlocks: 3
; VGPRBlocks: 20
; NumSGPRsForWavesPerEU: 28
; NumVGPRsForWavesPerEU: 81
; Occupancy: 3
; WaveLimiterHint : 1
; COMPUTE_PGM_RSRC2:SCRATCH_EN: 0
; COMPUTE_PGM_RSRC2:USER_SGPR: 6
; COMPUTE_PGM_RSRC2:TRAP_HANDLER: 0
; COMPUTE_PGM_RSRC2:TGID_X_EN: 1
; COMPUTE_PGM_RSRC2:TGID_Y_EN: 0
; COMPUTE_PGM_RSRC2:TGID_Z_EN: 0
; COMPUTE_PGM_RSRC2:TIDIG_COMP_CNT: 0
	.type	__hip_cuid_c6563756e76e526f,@object ; @__hip_cuid_c6563756e76e526f
	.section	.bss,"aw",@nobits
	.globl	__hip_cuid_c6563756e76e526f
__hip_cuid_c6563756e76e526f:
	.byte	0                               ; 0x0
	.size	__hip_cuid_c6563756e76e526f, 1

	.ident	"AMD clang version 19.0.0git (https://github.com/RadeonOpenCompute/llvm-project roc-6.4.0 25133 c7fe45cf4b819c5991fe208aaa96edf142730f1d)"
	.section	".note.GNU-stack","",@progbits
	.addrsig
	.addrsig_sym __hip_cuid_c6563756e76e526f
	.amdgpu_metadata
---
amdhsa.kernels:
  - .args:
      - .actual_access:  read_only
        .address_space:  global
        .offset:         0
        .size:           8
        .value_kind:     global_buffer
      - .offset:         8
        .size:           8
        .value_kind:     by_value
      - .actual_access:  read_only
        .address_space:  global
        .offset:         16
        .size:           8
        .value_kind:     global_buffer
      - .actual_access:  read_only
        .address_space:  global
        .offset:         24
        .size:           8
        .value_kind:     global_buffer
      - .offset:         32
        .size:           8
        .value_kind:     by_value
      - .actual_access:  read_only
        .address_space:  global
        .offset:         40
        .size:           8
        .value_kind:     global_buffer
      - .actual_access:  read_only
        .address_space:  global
        .offset:         48
        .size:           8
        .value_kind:     global_buffer
      - .offset:         56
        .size:           4
        .value_kind:     by_value
      - .actual_access:  read_only
        .address_space:  global
        .offset:         64
        .size:           8
        .value_kind:     global_buffer
      - .actual_access:  read_only
        .address_space:  global
        .offset:         72
        .size:           8
        .value_kind:     global_buffer
      - .address_space:  global
        .offset:         80
        .size:           8
        .value_kind:     global_buffer
    .group_segment_fixed_size: 0
    .kernarg_segment_align: 8
    .kernarg_segment_size: 88
    .language:       OpenCL C
    .language_version:
      - 2
      - 0
    .max_flat_workgroup_size: 64
    .name:           fft_rtc_fwd_len320_factors_10_4_4_2_wgs_64_tpt_16_halfLds_half_ip_CI_sbrr_dirReg
    .private_segment_fixed_size: 0
    .sgpr_count:     28
    .sgpr_spill_count: 0
    .symbol:         fft_rtc_fwd_len320_factors_10_4_4_2_wgs_64_tpt_16_halfLds_half_ip_CI_sbrr_dirReg.kd
    .uniform_work_group_size: 1
    .uses_dynamic_stack: false
    .vgpr_count:     81
    .vgpr_spill_count: 0
    .wavefront_size: 64
amdhsa.target:   amdgcn-amd-amdhsa--gfx906
amdhsa.version:
  - 1
  - 2
...

	.end_amdgpu_metadata
